;; amdgpu-corpus repo=ROCm/rocFFT kind=compiled arch=gfx1201 opt=O3
	.text
	.amdgcn_target "amdgcn-amd-amdhsa--gfx1201"
	.amdhsa_code_object_version 6
	.protected	fft_rtc_fwd_len3375_factors_5_5_5_3_3_3_wgs_225_tpt_225_halfLds_dp_ip_CI_sbrr_dirReg ; -- Begin function fft_rtc_fwd_len3375_factors_5_5_5_3_3_3_wgs_225_tpt_225_halfLds_dp_ip_CI_sbrr_dirReg
	.globl	fft_rtc_fwd_len3375_factors_5_5_5_3_3_3_wgs_225_tpt_225_halfLds_dp_ip_CI_sbrr_dirReg
	.p2align	8
	.type	fft_rtc_fwd_len3375_factors_5_5_5_3_3_3_wgs_225_tpt_225_halfLds_dp_ip_CI_sbrr_dirReg,@function
fft_rtc_fwd_len3375_factors_5_5_5_3_3_3_wgs_225_tpt_225_halfLds_dp_ip_CI_sbrr_dirReg: ; @fft_rtc_fwd_len3375_factors_5_5_5_3_3_3_wgs_225_tpt_225_halfLds_dp_ip_CI_sbrr_dirReg
; %bb.0:
	s_clause 0x2
	s_load_b64 s[12:13], s[0:1], 0x18
	s_load_b128 s[4:7], s[0:1], 0x0
	s_load_b64 s[10:11], s[0:1], 0x50
	v_mul_u32_u24_e32 v1, 0x124, v0
	v_mov_b32_e32 v3, 0
	s_delay_alu instid0(VALU_DEP_2) | instskip(NEXT) | instid1(VALU_DEP_1)
	v_lshrrev_b32_e32 v1, 16, v1
	v_add_nc_u32_e32 v5, ttmp9, v1
	v_mov_b32_e32 v1, 0
	v_mov_b32_e32 v2, 0
	;; [unrolled: 1-line block ×3, first 2 shown]
	s_wait_kmcnt 0x0
	s_load_b64 s[8:9], s[12:13], 0x0
	v_cmp_lt_u64_e64 s2, s[6:7], 2
	s_delay_alu instid0(VALU_DEP_1)
	s_and_b32 vcc_lo, exec_lo, s2
	s_cbranch_vccnz .LBB0_8
; %bb.1:
	s_load_b64 s[2:3], s[0:1], 0x10
	v_mov_b32_e32 v1, 0
	v_mov_b32_e32 v2, 0
	s_add_nc_u64 s[14:15], s[12:13], 8
	s_mov_b64 s[16:17], 1
	s_wait_kmcnt 0x0
	s_add_nc_u64 s[18:19], s[2:3], 8
	s_mov_b32 s3, 0
.LBB0_2:                                ; =>This Inner Loop Header: Depth=1
	s_load_b64 s[20:21], s[18:19], 0x0
                                        ; implicit-def: $vgpr7_vgpr8
	s_mov_b32 s2, exec_lo
	s_wait_kmcnt 0x0
	v_or_b32_e32 v4, s21, v6
	s_delay_alu instid0(VALU_DEP_1)
	v_cmpx_ne_u64_e32 0, v[3:4]
	s_wait_alu 0xfffe
	s_xor_b32 s22, exec_lo, s2
	s_cbranch_execz .LBB0_4
; %bb.3:                                ;   in Loop: Header=BB0_2 Depth=1
	s_cvt_f32_u32 s2, s20
	s_cvt_f32_u32 s23, s21
	s_sub_nc_u64 s[26:27], 0, s[20:21]
	s_wait_alu 0xfffe
	s_delay_alu instid0(SALU_CYCLE_1) | instskip(SKIP_1) | instid1(SALU_CYCLE_2)
	s_fmamk_f32 s2, s23, 0x4f800000, s2
	s_wait_alu 0xfffe
	v_s_rcp_f32 s2, s2
	s_delay_alu instid0(TRANS32_DEP_1) | instskip(SKIP_1) | instid1(SALU_CYCLE_2)
	s_mul_f32 s2, s2, 0x5f7ffffc
	s_wait_alu 0xfffe
	s_mul_f32 s23, s2, 0x2f800000
	s_wait_alu 0xfffe
	s_delay_alu instid0(SALU_CYCLE_2) | instskip(SKIP_1) | instid1(SALU_CYCLE_2)
	s_trunc_f32 s23, s23
	s_wait_alu 0xfffe
	s_fmamk_f32 s2, s23, 0xcf800000, s2
	s_cvt_u32_f32 s25, s23
	s_wait_alu 0xfffe
	s_delay_alu instid0(SALU_CYCLE_1) | instskip(SKIP_1) | instid1(SALU_CYCLE_2)
	s_cvt_u32_f32 s24, s2
	s_wait_alu 0xfffe
	s_mul_u64 s[28:29], s[26:27], s[24:25]
	s_wait_alu 0xfffe
	s_mul_hi_u32 s31, s24, s29
	s_mul_i32 s30, s24, s29
	s_mul_hi_u32 s2, s24, s28
	s_mul_i32 s33, s25, s28
	s_wait_alu 0xfffe
	s_add_nc_u64 s[30:31], s[2:3], s[30:31]
	s_mul_hi_u32 s23, s25, s28
	s_mul_hi_u32 s34, s25, s29
	s_add_co_u32 s2, s30, s33
	s_wait_alu 0xfffe
	s_add_co_ci_u32 s2, s31, s23
	s_mul_i32 s28, s25, s29
	s_add_co_ci_u32 s29, s34, 0
	s_wait_alu 0xfffe
	s_add_nc_u64 s[28:29], s[2:3], s[28:29]
	s_wait_alu 0xfffe
	v_add_co_u32 v4, s2, s24, s28
	s_delay_alu instid0(VALU_DEP_1) | instskip(SKIP_1) | instid1(VALU_DEP_1)
	s_cmp_lg_u32 s2, 0
	s_add_co_ci_u32 s25, s25, s29
	v_readfirstlane_b32 s24, v4
	s_wait_alu 0xfffe
	s_delay_alu instid0(VALU_DEP_1)
	s_mul_u64 s[26:27], s[26:27], s[24:25]
	s_wait_alu 0xfffe
	s_mul_hi_u32 s29, s24, s27
	s_mul_i32 s28, s24, s27
	s_mul_hi_u32 s2, s24, s26
	s_mul_i32 s30, s25, s26
	s_wait_alu 0xfffe
	s_add_nc_u64 s[28:29], s[2:3], s[28:29]
	s_mul_hi_u32 s23, s25, s26
	s_mul_hi_u32 s24, s25, s27
	s_wait_alu 0xfffe
	s_add_co_u32 s2, s28, s30
	s_add_co_ci_u32 s2, s29, s23
	s_mul_i32 s26, s25, s27
	s_add_co_ci_u32 s27, s24, 0
	s_wait_alu 0xfffe
	s_add_nc_u64 s[26:27], s[2:3], s[26:27]
	s_wait_alu 0xfffe
	v_add_co_u32 v4, s2, v4, s26
	s_delay_alu instid0(VALU_DEP_1) | instskip(SKIP_1) | instid1(VALU_DEP_1)
	s_cmp_lg_u32 s2, 0
	s_add_co_ci_u32 s2, s25, s27
	v_mul_hi_u32 v13, v5, v4
	s_wait_alu 0xfffe
	v_mad_co_u64_u32 v[7:8], null, v5, s2, 0
	v_mad_co_u64_u32 v[9:10], null, v6, v4, 0
	;; [unrolled: 1-line block ×3, first 2 shown]
	s_delay_alu instid0(VALU_DEP_3) | instskip(SKIP_1) | instid1(VALU_DEP_4)
	v_add_co_u32 v4, vcc_lo, v13, v7
	s_wait_alu 0xfffd
	v_add_co_ci_u32_e32 v7, vcc_lo, 0, v8, vcc_lo
	s_delay_alu instid0(VALU_DEP_2) | instskip(SKIP_1) | instid1(VALU_DEP_2)
	v_add_co_u32 v4, vcc_lo, v4, v9
	s_wait_alu 0xfffd
	v_add_co_ci_u32_e32 v4, vcc_lo, v7, v10, vcc_lo
	s_wait_alu 0xfffd
	v_add_co_ci_u32_e32 v7, vcc_lo, 0, v12, vcc_lo
	s_delay_alu instid0(VALU_DEP_2) | instskip(SKIP_1) | instid1(VALU_DEP_2)
	v_add_co_u32 v4, vcc_lo, v4, v11
	s_wait_alu 0xfffd
	v_add_co_ci_u32_e32 v9, vcc_lo, 0, v7, vcc_lo
	s_delay_alu instid0(VALU_DEP_2) | instskip(SKIP_1) | instid1(VALU_DEP_3)
	v_mul_lo_u32 v10, s21, v4
	v_mad_co_u64_u32 v[7:8], null, s20, v4, 0
	v_mul_lo_u32 v11, s20, v9
	s_delay_alu instid0(VALU_DEP_2) | instskip(NEXT) | instid1(VALU_DEP_2)
	v_sub_co_u32 v7, vcc_lo, v5, v7
	v_add3_u32 v8, v8, v11, v10
	s_delay_alu instid0(VALU_DEP_1) | instskip(SKIP_1) | instid1(VALU_DEP_1)
	v_sub_nc_u32_e32 v10, v6, v8
	s_wait_alu 0xfffd
	v_subrev_co_ci_u32_e64 v10, s2, s21, v10, vcc_lo
	v_add_co_u32 v11, s2, v4, 2
	s_wait_alu 0xf1ff
	v_add_co_ci_u32_e64 v12, s2, 0, v9, s2
	v_sub_co_u32 v13, s2, v7, s20
	v_sub_co_ci_u32_e32 v8, vcc_lo, v6, v8, vcc_lo
	s_wait_alu 0xf1ff
	v_subrev_co_ci_u32_e64 v10, s2, 0, v10, s2
	s_delay_alu instid0(VALU_DEP_3) | instskip(NEXT) | instid1(VALU_DEP_3)
	v_cmp_le_u32_e32 vcc_lo, s20, v13
	v_cmp_eq_u32_e64 s2, s21, v8
	s_wait_alu 0xfffd
	v_cndmask_b32_e64 v13, 0, -1, vcc_lo
	v_cmp_le_u32_e32 vcc_lo, s21, v10
	s_wait_alu 0xfffd
	v_cndmask_b32_e64 v14, 0, -1, vcc_lo
	v_cmp_le_u32_e32 vcc_lo, s20, v7
	;; [unrolled: 3-line block ×3, first 2 shown]
	s_wait_alu 0xfffd
	v_cndmask_b32_e64 v15, 0, -1, vcc_lo
	v_cmp_eq_u32_e32 vcc_lo, s21, v10
	s_wait_alu 0xf1ff
	s_delay_alu instid0(VALU_DEP_2)
	v_cndmask_b32_e64 v7, v15, v7, s2
	s_wait_alu 0xfffd
	v_cndmask_b32_e32 v10, v14, v13, vcc_lo
	v_add_co_u32 v13, vcc_lo, v4, 1
	s_wait_alu 0xfffd
	v_add_co_ci_u32_e32 v14, vcc_lo, 0, v9, vcc_lo
	s_delay_alu instid0(VALU_DEP_3) | instskip(SKIP_2) | instid1(VALU_DEP_3)
	v_cmp_ne_u32_e32 vcc_lo, 0, v10
	s_wait_alu 0xfffd
	v_cndmask_b32_e32 v10, v13, v11, vcc_lo
	v_cndmask_b32_e32 v8, v14, v12, vcc_lo
	v_cmp_ne_u32_e32 vcc_lo, 0, v7
	s_wait_alu 0xfffd
	s_delay_alu instid0(VALU_DEP_2)
	v_dual_cndmask_b32 v7, v4, v10 :: v_dual_cndmask_b32 v8, v9, v8
.LBB0_4:                                ;   in Loop: Header=BB0_2 Depth=1
	s_wait_alu 0xfffe
	s_and_not1_saveexec_b32 s2, s22
	s_cbranch_execz .LBB0_6
; %bb.5:                                ;   in Loop: Header=BB0_2 Depth=1
	v_cvt_f32_u32_e32 v4, s20
	s_sub_co_i32 s22, 0, s20
	s_delay_alu instid0(VALU_DEP_1) | instskip(NEXT) | instid1(TRANS32_DEP_1)
	v_rcp_iflag_f32_e32 v4, v4
	v_mul_f32_e32 v4, 0x4f7ffffe, v4
	s_delay_alu instid0(VALU_DEP_1) | instskip(SKIP_1) | instid1(VALU_DEP_1)
	v_cvt_u32_f32_e32 v4, v4
	s_wait_alu 0xfffe
	v_mul_lo_u32 v7, s22, v4
	s_delay_alu instid0(VALU_DEP_1) | instskip(NEXT) | instid1(VALU_DEP_1)
	v_mul_hi_u32 v7, v4, v7
	v_add_nc_u32_e32 v4, v4, v7
	s_delay_alu instid0(VALU_DEP_1) | instskip(NEXT) | instid1(VALU_DEP_1)
	v_mul_hi_u32 v4, v5, v4
	v_mul_lo_u32 v7, v4, s20
	v_add_nc_u32_e32 v8, 1, v4
	s_delay_alu instid0(VALU_DEP_2) | instskip(NEXT) | instid1(VALU_DEP_1)
	v_sub_nc_u32_e32 v7, v5, v7
	v_subrev_nc_u32_e32 v9, s20, v7
	v_cmp_le_u32_e32 vcc_lo, s20, v7
	s_wait_alu 0xfffd
	s_delay_alu instid0(VALU_DEP_2) | instskip(NEXT) | instid1(VALU_DEP_1)
	v_dual_cndmask_b32 v7, v7, v9 :: v_dual_cndmask_b32 v4, v4, v8
	v_cmp_le_u32_e32 vcc_lo, s20, v7
	s_delay_alu instid0(VALU_DEP_2) | instskip(SKIP_1) | instid1(VALU_DEP_1)
	v_add_nc_u32_e32 v8, 1, v4
	s_wait_alu 0xfffd
	v_dual_cndmask_b32 v7, v4, v8 :: v_dual_mov_b32 v8, v3
.LBB0_6:                                ;   in Loop: Header=BB0_2 Depth=1
	s_wait_alu 0xfffe
	s_or_b32 exec_lo, exec_lo, s2
	s_load_b64 s[22:23], s[14:15], 0x0
	s_delay_alu instid0(VALU_DEP_1)
	v_mul_lo_u32 v4, v8, s20
	v_mul_lo_u32 v11, v7, s21
	v_mad_co_u64_u32 v[9:10], null, v7, s20, 0
	s_add_nc_u64 s[16:17], s[16:17], 1
	s_add_nc_u64 s[14:15], s[14:15], 8
	s_wait_alu 0xfffe
	v_cmp_ge_u64_e64 s2, s[16:17], s[6:7]
	s_add_nc_u64 s[18:19], s[18:19], 8
	s_delay_alu instid0(VALU_DEP_2) | instskip(NEXT) | instid1(VALU_DEP_3)
	v_add3_u32 v4, v10, v11, v4
	v_sub_co_u32 v5, vcc_lo, v5, v9
	s_wait_alu 0xfffd
	s_delay_alu instid0(VALU_DEP_2) | instskip(SKIP_3) | instid1(VALU_DEP_2)
	v_sub_co_ci_u32_e32 v4, vcc_lo, v6, v4, vcc_lo
	s_and_b32 vcc_lo, exec_lo, s2
	s_wait_kmcnt 0x0
	v_mul_lo_u32 v6, s23, v5
	v_mul_lo_u32 v4, s22, v4
	v_mad_co_u64_u32 v[1:2], null, s22, v5, v[1:2]
	s_delay_alu instid0(VALU_DEP_1)
	v_add3_u32 v2, v6, v2, v4
	s_wait_alu 0xfffe
	s_cbranch_vccnz .LBB0_9
; %bb.7:                                ;   in Loop: Header=BB0_2 Depth=1
	v_dual_mov_b32 v5, v7 :: v_dual_mov_b32 v6, v8
	s_branch .LBB0_2
.LBB0_8:
	v_dual_mov_b32 v8, v6 :: v_dual_mov_b32 v7, v5
.LBB0_9:
	s_lshl_b64 s[2:3], s[6:7], 3
	v_mul_hi_u32 v3, 0x1234568, v0
	s_wait_alu 0xfffe
	s_add_nc_u64 s[2:3], s[12:13], s[2:3]
	s_load_b64 s[0:1], s[0:1], 0x20
	s_load_b64 s[2:3], s[2:3], 0x0
                                        ; implicit-def: $vgpr109
                                        ; implicit-def: $vgpr110
                                        ; implicit-def: $vgpr111
                                        ; implicit-def: $vgpr112
	s_delay_alu instid0(VALU_DEP_1) | instskip(NEXT) | instid1(VALU_DEP_1)
	v_mul_u32_u24_e32 v3, 0xe1, v3
	v_sub_nc_u32_e32 v99, v0, v3
	s_delay_alu instid0(VALU_DEP_1)
	v_add_nc_u32_e32 v100, 0xe1, v99
	v_add_nc_u32_e32 v98, 0x1c2, v99
	;; [unrolled: 1-line block ×4, first 2 shown]
	s_wait_kmcnt 0x0
	v_cmp_gt_u64_e32 vcc_lo, s[0:1], v[7:8]
	v_mul_lo_u32 v3, s2, v8
	v_mul_lo_u32 v4, s3, v7
	v_mad_co_u64_u32 v[0:1], null, s2, v7, v[1:2]
	v_cmp_le_u64_e64 s0, s[0:1], v[7:8]
	s_delay_alu instid0(VALU_DEP_2) | instskip(NEXT) | instid1(VALU_DEP_2)
	v_add3_u32 v1, v4, v1, v3
	s_and_saveexec_b32 s1, s0
	s_wait_alu 0xfffe
	s_xor_b32 s0, exec_lo, s1
; %bb.10:
	v_add_nc_u32_e32 v109, 0xe1, v99
	v_add_nc_u32_e32 v110, 0x1c2, v99
	;; [unrolled: 1-line block ×4, first 2 shown]
; %bb.11:
	s_wait_alu 0xfffe
	s_or_saveexec_b32 s1, s0
	v_lshlrev_b64_e32 v[80:81], 4, v[0:1]
	v_add_nc_u32_e32 v105, 0x546, v99
	v_add_nc_u32_e32 v102, 0xa8c, v99
	v_add_nc_u32_e32 v104, 0x627, v99
	v_add_nc_u32_e32 v106, 0x8ca, v99
	v_add_nc_u32_e32 v101, 0xb6d, v99
	v_add_nc_u32_e32 v108, 0x465, v99
	v_add_nc_u32_e32 v103, 0x708, v99
	v_add_nc_u32_e32 v107, 0x9ab, v99
                                        ; implicit-def: $vgpr18_vgpr19
                                        ; implicit-def: $vgpr38_vgpr39
                                        ; implicit-def: $vgpr50_vgpr51
                                        ; implicit-def: $vgpr58_vgpr59
                                        ; implicit-def: $vgpr54_vgpr55
                                        ; implicit-def: $vgpr14_vgpr15
                                        ; implicit-def: $vgpr26_vgpr27
                                        ; implicit-def: $vgpr30_vgpr31
                                        ; implicit-def: $vgpr46_vgpr47
                                        ; implicit-def: $vgpr22_vgpr23
                                        ; implicit-def: $vgpr2_vgpr3
                                        ; implicit-def: $vgpr6_vgpr7
                                        ; implicit-def: $vgpr34_vgpr35
                                        ; implicit-def: $vgpr42_vgpr43
                                        ; implicit-def: $vgpr10_vgpr11
	s_wait_alu 0xfffe
	s_xor_b32 exec_lo, exec_lo, s1
	s_cbranch_execz .LBB0_13
; %bb.12:
	v_mad_co_u64_u32 v[0:1], null, s8, v99, 0
	v_mad_co_u64_u32 v[2:3], null, s8, v96, 0
	;; [unrolled: 1-line block ×3, first 2 shown]
	v_add_nc_u32_e32 v9, 0x7e9, v99
	v_mad_co_u64_u32 v[24:25], null, s8, v106, 0
	v_add_co_u32 v54, s0, s10, v80
	v_mad_co_u64_u32 v[6:7], null, s9, v99, v[1:2]
	v_mad_co_u64_u32 v[7:8], null, s9, v96, v[3:4]
	v_mad_co_u64_u32 v[12:13], null, s8, v9, 0
	v_mad_co_u64_u32 v[14:15], null, s8, v102, 0
	s_delay_alu instid0(VALU_DEP_4)
	v_mov_b32_e32 v1, v6
	s_wait_alu 0xf1ff
	v_add_co_ci_u32_e64 v55, s0, s11, v81, s0
	v_mov_b32_e32 v3, v7
	v_mad_co_u64_u32 v[5:6], null, s9, v105, v[5:6]
	v_lshlrev_b64_e32 v[0:1], 4, v[0:1]
	v_mov_b32_e32 v6, v13
	s_delay_alu instid0(VALU_DEP_4)
	v_lshlrev_b64_e32 v[2:3], 4, v[2:3]
	v_mad_co_u64_u32 v[36:37], null, s8, v98, 0
	v_mov_b32_e32 v7, v15
	v_add_co_u32 v0, s0, v54, v0
	s_wait_alu 0xf1ff
	v_add_co_ci_u32_e64 v1, s0, v55, v1, s0
	v_add_co_u32 v2, s0, v54, v2
	s_wait_alu 0xf1ff
	v_add_co_ci_u32_e64 v3, s0, v55, v3, s0
	v_mad_co_u64_u32 v[18:19], null, s9, v9, v[6:7]
	v_mad_co_u64_u32 v[6:7], null, s9, v102, v[7:8]
	s_clause 0x1
	global_load_b128 v[8:11], v[0:1], off
	global_load_b128 v[40:43], v[2:3], off
	v_mad_co_u64_u32 v[16:17], null, s8, v100, 0
	v_mad_co_u64_u32 v[38:39], null, s8, v103, 0
	v_mov_b32_e32 v13, v18
	v_mad_co_u64_u32 v[48:49], null, s8, v107, 0
	v_mov_b32_e32 v15, v6
	v_mov_b32_e32 v7, v17
	v_lshlrev_b64_e32 v[0:1], 4, v[4:5]
	v_mad_co_u64_u32 v[26:27], null, s8, v101, 0
	s_delay_alu instid0(VALU_DEP_4) | instskip(SKIP_1) | instid1(VALU_DEP_4)
	v_lshlrev_b64_e32 v[5:6], 4, v[14:15]
	v_mad_co_u64_u32 v[14:15], null, s8, v104, 0
	v_add_co_u32 v0, s0, v54, v0
	s_wait_alu 0xf1ff
	v_add_co_ci_u32_e64 v1, s0, v55, v1, s0
	v_mov_b32_e32 v111, v96
	v_dual_mov_b32 v109, v100 :: v_dual_mov_b32 v112, v97
	v_mov_b32_e32 v110, v98
	s_wait_loadcnt 0x1
	v_mad_co_u64_u32 v[2:3], null, s9, v100, v[7:8]
	v_lshlrev_b64_e32 v[3:4], 4, v[12:13]
	v_mad_co_u64_u32 v[12:13], null, s8, v97, 0
	s_delay_alu instid0(VALU_DEP_3) | instskip(NEXT) | instid1(VALU_DEP_3)
	v_mov_b32_e32 v17, v2
	v_add_co_u32 v2, s0, v54, v3
	s_wait_alu 0xf1ff
	s_delay_alu instid0(VALU_DEP_4)
	v_add_co_ci_u32_e64 v3, s0, v55, v4, s0
	v_add_co_u32 v18, s0, v54, v5
	v_dual_mov_b32 v4, v13 :: v_dual_mov_b32 v5, v15
	v_lshlrev_b64_e32 v[16:17], 4, v[16:17]
	s_wait_alu 0xf1ff
	v_add_co_ci_u32_e64 v19, s0, v55, v6, s0
	s_delay_alu instid0(VALU_DEP_3) | instskip(SKIP_1) | instid1(VALU_DEP_4)
	v_mad_co_u64_u32 v[20:21], null, s9, v97, v[4:5]
	v_mad_co_u64_u32 v[21:22], null, s9, v104, v[5:6]
	v_add_co_u32 v16, s0, v54, v16
	s_wait_alu 0xf1ff
	v_add_co_ci_u32_e64 v17, s0, v55, v17, s0
	s_clause 0x1
	global_load_b128 v[32:35], v[0:1], off
	global_load_b128 v[4:7], v[2:3], off
	v_mov_b32_e32 v13, v20
	v_mov_b32_e32 v15, v21
	s_clause 0x1
	global_load_b128 v[0:3], v[18:19], off
	global_load_b128 v[20:23], v[16:17], off
	v_dual_mov_b32 v16, v25 :: v_dual_mov_b32 v17, v27
	v_lshlrev_b64_e32 v[12:13], 4, v[12:13]
	v_lshlrev_b64_e32 v[14:15], 4, v[14:15]
	s_delay_alu instid0(VALU_DEP_3) | instskip(SKIP_1) | instid1(VALU_DEP_4)
	v_mad_co_u64_u32 v[18:19], null, s9, v106, v[16:17]
	v_add_nc_u32_e32 v19, 0xc4e, v99
	v_add_co_u32 v12, s0, v54, v12
	s_wait_alu 0xf1ff
	v_add_co_ci_u32_e64 v13, s0, v55, v13, s0
	v_add_co_u32 v14, s0, v54, v14
	v_mad_co_u64_u32 v[16:17], null, s9, v101, v[17:18]
	v_mov_b32_e32 v25, v18
	s_wait_alu 0xf1ff
	v_add_co_ci_u32_e64 v15, s0, v55, v15, s0
	s_clause 0x1
	global_load_b128 v[44:47], v[12:13], off
	global_load_b128 v[28:31], v[14:15], off
	v_dual_mov_b32 v27, v16 :: v_dual_mov_b32 v16, v37
	v_lshlrev_b64_e32 v[12:13], 4, v[24:25]
	s_delay_alu instid0(VALU_DEP_2) | instskip(NEXT) | instid1(VALU_DEP_3)
	v_lshlrev_b64_e32 v[14:15], 4, v[26:27]
	v_mad_co_u64_u32 v[16:17], null, s9, v98, v[16:17]
	v_mad_co_u64_u32 v[17:18], null, s8, v108, 0
	s_delay_alu instid0(VALU_DEP_4) | instskip(SKIP_2) | instid1(VALU_DEP_4)
	v_add_co_u32 v12, s0, v54, v12
	s_wait_alu 0xf1ff
	v_add_co_ci_u32_e64 v13, s0, v55, v13, s0
	v_mov_b32_e32 v37, v16
	v_add_co_u32 v14, s0, v54, v14
	v_mov_b32_e32 v16, v18
	v_mov_b32_e32 v18, v39
	s_delay_alu instid0(VALU_DEP_4)
	v_lshlrev_b64_e32 v[36:37], 4, v[36:37]
	s_wait_alu 0xf1ff
	v_add_co_ci_u32_e64 v15, s0, v55, v15, s0
	v_mad_co_u64_u32 v[50:51], null, s9, v108, v[16:17]
	v_mad_co_u64_u32 v[51:52], null, s9, v103, v[18:19]
	;; [unrolled: 1-line block ×3, first 2 shown]
	v_mov_b32_e32 v16, v49
	v_add_co_u32 v36, s0, v54, v36
	s_delay_alu instid0(VALU_DEP_4) | instskip(NEXT) | instid1(VALU_DEP_3)
	v_dual_mov_b32 v18, v50 :: v_dual_mov_b32 v39, v51
	v_mad_co_u64_u32 v[49:50], null, s9, v107, v[16:17]
	v_mov_b32_e32 v16, v53
	s_delay_alu instid0(VALU_DEP_3)
	v_lshlrev_b64_e32 v[17:18], 4, v[17:18]
	s_wait_alu 0xf1ff
	v_add_co_ci_u32_e64 v37, s0, v55, v37, s0
	v_lshlrev_b64_e32 v[38:39], 4, v[38:39]
	s_clause 0x1
	global_load_b128 v[24:27], v[12:13], off
	global_load_b128 v[12:15], v[14:15], off
	v_mad_co_u64_u32 v[50:51], null, s9, v19, v[16:17]
	v_add_co_u32 v16, s0, v54, v17
	s_wait_alu 0xf1ff
	v_add_co_ci_u32_e64 v17, s0, v55, v18, s0
	v_lshlrev_b64_e32 v[18:19], 4, v[48:49]
	v_add_co_u32 v38, s0, v54, v38
	v_mov_b32_e32 v53, v50
	s_wait_alu 0xf1ff
	v_add_co_ci_u32_e64 v39, s0, v55, v39, s0
	s_delay_alu instid0(VALU_DEP_4) | instskip(NEXT) | instid1(VALU_DEP_3)
	v_add_co_u32 v18, s0, v54, v18
	v_lshlrev_b64_e32 v[48:49], 4, v[52:53]
	s_wait_alu 0xf1ff
	v_add_co_ci_u32_e64 v19, s0, v55, v19, s0
	s_delay_alu instid0(VALU_DEP_2) | instskip(SKIP_1) | instid1(VALU_DEP_3)
	v_add_co_u32 v60, s0, v54, v48
	s_wait_alu 0xf1ff
	v_add_co_ci_u32_e64 v61, s0, v55, v49, s0
	s_clause 0x4
	global_load_b128 v[52:55], v[36:37], off
	global_load_b128 v[56:59], v[16:17], off
	;; [unrolled: 1-line block ×5, first 2 shown]
.LBB0_13:
	s_or_b32 exec_lo, exec_lo, s1
	s_wait_loadcnt 0xb
	v_add_f64_e32 v[60:61], v[4:5], v[32:33]
	s_wait_loadcnt 0xa
	v_add_f64_e32 v[62:63], v[0:1], v[40:41]
	;; [unrolled: 2-line block ×5, first 2 shown]
	v_add_f64_e32 v[74:75], v[6:7], v[34:35]
	v_add_f64_e32 v[76:77], v[2:3], v[42:43]
	;; [unrolled: 1-line block ×7, first 2 shown]
	v_add_f64_e64 v[88:89], v[42:43], -v[2:3]
	v_add_f64_e64 v[115:116], v[34:35], -v[6:7]
	v_add_f64_e32 v[82:83], v[14:15], v[46:47]
	v_add_f64_e32 v[86:87], v[46:47], v[22:23]
	v_add_f64_e64 v[123:124], v[46:47], -v[14:15]
	v_add_f64_e32 v[129:130], v[38:39], v[50:51]
	v_add_f64_e64 v[131:132], v[30:31], -v[26:27]
	v_add_f64_e32 v[133:134], v[18:19], v[58:59]
	v_add_f64_e32 v[137:138], v[56:57], v[52:53]
	v_add_f64_e64 v[145:146], v[56:57], -v[48:49]
	v_add_f64_e64 v[147:148], v[16:17], -v[36:37]
	s_mov_b32 s2, 0x134454ff
	s_mov_b32 s3, 0x3fee6f0e
	;; [unrolled: 1-line block ×3, first 2 shown]
	s_wait_alu 0xfffe
	s_mov_b32 s6, s2
	v_add_f64_e64 v[90:91], v[40:41], -v[32:33]
	v_add_f64_e64 v[92:93], v[32:33], -v[40:41]
	;; [unrolled: 1-line block ×11, first 2 shown]
	v_fma_f64 v[60:61], v[60:61], -0.5, v[8:9]
	v_fma_f64 v[8:9], v[62:63], -0.5, v[8:9]
	;; [unrolled: 1-line block ×4, first 2 shown]
	v_add_f64_e64 v[66:67], v[50:51], -v[38:39]
	v_fma_f64 v[68:69], v[68:69], -0.5, v[52:53]
	v_fma_f64 v[74:75], v[74:75], -0.5, v[10:11]
	;; [unrolled: 1-line block ×3, first 2 shown]
	v_add_f64_e64 v[76:77], v[58:59], -v[18:19]
	v_fma_f64 v[52:53], v[113:114], -0.5, v[52:53]
	v_add_f64_e32 v[139:140], v[58:59], v[54:55]
	v_add_f64_e32 v[32:33], v[32:33], v[70:71]
	;; [unrolled: 1-line block ×3, first 2 shown]
	v_add_f64_e64 v[70:71], v[48:49], -v[56:57]
	v_add_f64_e64 v[72:73], v[36:37], -v[16:17]
	v_fma_f64 v[78:79], v[78:79], -0.5, v[22:23]
	v_add_f64_e32 v[28:29], v[28:29], v[84:85]
	v_add_f64_e64 v[121:122], v[4:5], -v[0:1]
	v_add_f64_e64 v[62:63], v[46:47], -v[30:31]
	;; [unrolled: 1-line block ×3, first 2 shown]
	v_fma_f64 v[22:23], v[82:83], -0.5, v[22:23]
	v_add_f64_e32 v[30:31], v[30:31], v[86:87]
	v_fma_f64 v[86:87], v[129:130], -0.5, v[54:55]
	v_add_f64_e64 v[141:142], v[12:13], -v[24:25]
	v_add_f64_e64 v[56:57], v[56:57], -v[16:17]
	v_fma_f64 v[54:55], v[133:134], -0.5, v[54:55]
	v_add_f64_e64 v[143:144], v[24:25], -v[12:13]
	v_add_f64_e32 v[137:138], v[48:49], v[137:138]
	v_add_f64_e64 v[48:49], v[48:49], -v[36:37]
	v_add_f64_e32 v[145:146], v[147:148], v[145:146]
	s_mov_b32 s12, 0x4755a5e
	s_mov_b32 s13, 0x3fe2cf23
	s_mov_b32 s15, 0xbfe2cf23
	s_mov_b32 s14, s12
	v_add_f64_e64 v[82:83], v[58:59], -v[50:51]
	v_add_f64_e64 v[58:59], v[50:51], -v[58:59]
	;; [unrolled: 1-line block ×3, first 2 shown]
	v_add_f64_e32 v[90:91], v[119:120], v[90:91]
	v_fma_f64 v[113:114], v[88:89], s[2:3], v[60:61]
	s_wait_alu 0xfffe
	v_fma_f64 v[60:61], v[88:89], s[6:7], v[60:61]
	v_fma_f64 v[84:85], v[115:116], s[6:7], v[8:9]
	;; [unrolled: 1-line block ×11, first 2 shown]
	v_add_f64_e32 v[50:51], v[50:51], v[139:140]
	v_add_f64_e64 v[119:120], v[14:15], -v[26:27]
	v_add_f64_e32 v[70:71], v[72:73], v[70:71]
	v_fma_f64 v[72:73], v[40:41], s[6:7], v[74:75]
	v_add_f64_e64 v[139:140], v[6:7], -v[2:3]
	v_add_f64_e32 v[92:93], v[121:122], v[92:93]
	v_add_f64_e64 v[121:122], v[26:27], -v[14:15]
	v_fma_f64 v[74:75], v[40:41], s[2:3], v[74:75]
	v_add_f64_e32 v[4:5], v[4:5], v[32:33]
	v_add_f64_e32 v[24:25], v[24:25], v[28:29]
	;; [unrolled: 1-line block ×4, first 2 shown]
	v_add_f64_e64 v[141:142], v[18:19], -v[38:39]
	v_add_f64_e32 v[26:27], v[26:27], v[30:31]
	v_add_f64_e32 v[127:128], v[143:144], v[127:128]
	v_add_f64_e64 v[143:144], v[38:39], -v[18:19]
	v_add_f64_e32 v[28:29], v[36:37], v[137:138]
	s_mov_b32 s16, 0x372fe950
	s_mov_b32 s17, 0x3fd3c6ef
	v_cmp_gt_u32_e64 s0, 0x7d, v99
	v_fma_f64 v[113:114], v[115:116], s[12:13], v[113:114]
	v_fma_f64 v[60:61], v[115:116], s[14:15], v[60:61]
	;; [unrolled: 1-line block ×22, first 2 shown]
	v_add_f64_e32 v[52:53], v[151:152], v[94:95]
	v_add_f64_e32 v[62:63], v[119:120], v[62:63]
	;; [unrolled: 1-line block ×3, first 2 shown]
	v_fma_f64 v[34:35], v[117:118], s[14:15], v[72:73]
	v_add_f64_e32 v[42:43], v[139:140], v[42:43]
	v_add_f64_e32 v[46:47], v[121:122], v[46:47]
	v_fma_f64 v[38:39], v[117:118], s[12:13], v[74:75]
	v_add_f64_e32 v[66:67], v[141:142], v[82:83]
	v_add_f64_e32 v[58:59], v[143:144], v[58:59]
	;; [unrolled: 1-line block ×5, first 2 shown]
	v_and_b32_e32 v121, 0xffff, v109
	v_lshlrev_b32_e32 v118, 5, v109
	v_lshlrev_b32_e32 v117, 5, v110
	v_and_b32_e32 v122, 0xffff, v110
	s_wait_alu 0xfffe
	v_fma_f64 v[60:61], v[90:91], s[16:17], v[60:61]
	v_fma_f64 v[50:51], v[40:41], s[14:15], v[115:116]
	;; [unrolled: 1-line block ×22, first 2 shown]
	v_add_f64_e32 v[56:57], v[2:3], v[6:7]
	v_add_f64_e32 v[69:70], v[14:15], v[26:27]
	v_fma_f64 v[34:35], v[52:53], s[16:17], v[34:35]
	v_mad_u32_u24 v71, v99, 40, 0
	v_add_f64_e32 v[86:87], v[18:19], v[30:31]
	v_fma_f64 v[38:39], v[52:53], s[16:17], v[38:39]
	v_mad_i32_i24 v113, v109, 40, 0
	v_mad_i32_i24 v114, v110, 40, 0
	v_lshlrev_b32_e32 v68, 5, v99
	v_lshl_add_u32 v116, v111, 3, 0
	v_mul_u32_u24_e32 v159, 0x625, v121
	v_sub_nc_u32_e32 v119, v113, v118
	v_sub_nc_u32_e32 v120, v114, v117
	v_sub_nc_u32_e32 v115, v71, v68
	v_mul_u32_u24_e32 v160, 0x625, v122
	ds_store_2addr_b64 v71, v[0:1], v[78:79] offset1:1
	ds_store_2addr_b64 v71, v[82:83], v[8:9] offset0:2 offset1:3
	ds_store_b64 v71, v[60:61] offset:32
	ds_store_2addr_b64 v113, v[12:13], v[84:85] offset1:1
	ds_store_2addr_b64 v113, v[4:5], v[20:21] offset0:2 offset1:3
	ds_store_b64 v113, v[64:65] offset:32
	ds_store_2addr_b64 v114, v[16:17], v[28:29] offset1:1
	ds_store_2addr_b64 v114, v[24:25], v[32:33] offset0:2 offset1:3
	ds_store_b64 v114, v[36:37] offset:32
	v_fma_f64 v[40:41], v[62:63], s[16:17], v[40:41]
	v_fma_f64 v[50:51], v[42:43], s[16:17], v[50:51]
	;; [unrolled: 1-line block ×10, first 2 shown]
	v_and_b32_e32 v28, 0xff, v99
	v_mul_u32_u24_e32 v29, 0xcccd, v121
	v_add_nc_u32_e32 v68, 0x2a00, v115
	v_add_nc_u32_e32 v72, 0x3800, v115
	;; [unrolled: 1-line block ×3, first 2 shown]
	v_mul_lo_u16 v24, 0xcd, v28
	v_lshrrev_b32_e32 v32, 18, v29
	v_add_nc_u32_e32 v73, 0x5400, v115
	v_add_nc_u32_e32 v123, 0x4600, v115
	global_wb scope:SCOPE_SE
	s_wait_dscnt 0x0
	v_lshrrev_b16 v30, 10, v24
	v_mul_lo_u16 v29, v32, 5
	s_barrier_signal -1
	s_barrier_wait -1
	global_inv scope:SCOPE_SE
	v_mul_lo_u16 v31, v30, 5
	v_sub_nc_u16 v33, v109, v29
	ds_load_b64 v[20:21], v115
	ds_load_2addr_b64 v[8:11], v68 offset0:6 offset1:231
	ds_load_2addr_b64 v[0:3], v72 offset0:8 offset1:233
	;; [unrolled: 1-line block ×3, first 2 shown]
	v_sub_nc_u16 v31, v99, v31
	ds_load_2addr_b64 v[16:19], v124 offset0:4 offset1:229
	ds_load_2addr_b64 v[12:15], v123 offset0:10 offset1:235
	ds_load_b64 v[22:23], v120
	ds_load_b64 v[24:25], v119
	;; [unrolled: 1-line block ×3, first 2 shown]
	ds_load_b64 v[26:27], v115 offset:25200
	global_wb scope:SCOPE_SE
	s_wait_dscnt 0x0
	v_and_b32_e32 v29, 0xff, v31
	v_and_b32_e32 v31, 0xffff, v33
	s_barrier_signal -1
	s_barrier_wait -1
	global_inv scope:SCOPE_SE
	v_lshlrev_b32_e32 v33, 6, v29
	ds_store_2addr_b64 v71, v[56:57], v[34:35] offset1:1
	ds_store_2addr_b64 v71, v[50:51], v[42:43] offset0:2 offset1:3
	ds_store_b64 v71, v[38:39] offset:32
	ds_store_2addr_b64 v113, v[69:70], v[40:41] offset1:1
	ds_store_2addr_b64 v113, v[62:63], v[46:47] offset0:2 offset1:3
	ds_store_b64 v113, v[52:53] offset:32
	v_lshlrev_b32_e32 v63, 6, v31
	ds_store_2addr_b64 v114, v[86:87], v[44:45] offset1:1
	ds_store_2addr_b64 v114, v[66:67], v[54:55] offset0:2 offset1:3
	ds_store_b64 v114, v[48:49] offset:32
	global_wb scope:SCOPE_SE
	s_wait_dscnt 0x0
	s_barrier_signal -1
	s_barrier_wait -1
	global_inv scope:SCOPE_SE
	s_clause 0x5
	global_load_b128 v[35:38], v33, s[4:5] offset:16
	global_load_b128 v[39:42], v63, s[4:5] offset:16
	;; [unrolled: 1-line block ×4, first 2 shown]
	global_load_b128 v[51:54], v33, s[4:5]
	global_load_b128 v[55:58], v33, s[4:5] offset:32
	v_mul_u32_u24_e32 v34, 0xcccd, v122
	v_mul_lo_u16 v28, v28, 41
	v_and_b32_e32 v30, 0xffff, v30
	v_mul_u32_u24_e32 v32, 0xc8, v32
	s_delay_alu instid0(VALU_DEP_4) | instskip(NEXT) | instid1(VALU_DEP_3)
	v_lshrrev_b32_e32 v34, 18, v34
	v_mul_u32_u24_e32 v30, 0xc8, v30
	s_delay_alu instid0(VALU_DEP_2) | instskip(SKIP_1) | instid1(VALU_DEP_2)
	v_mul_lo_u16 v33, v34, 5
	v_mul_u32_u24_e32 v34, 0xc8, v34
	v_sub_nc_u16 v33, v110, v33
	s_delay_alu instid0(VALU_DEP_1) | instskip(NEXT) | instid1(VALU_DEP_1)
	v_and_b32_e32 v33, 0xffff, v33
	v_lshlrev_b32_e32 v67, 6, v33
	s_clause 0x5
	global_load_b128 v[59:62], v63, s[4:5]
	global_load_b128 v[63:66], v63, s[4:5] offset:32
	global_load_b128 v[74:77], v67, s[4:5]
	global_load_b128 v[82:85], v67, s[4:5] offset:16
	global_load_b128 v[86:89], v67, s[4:5] offset:32
	;; [unrolled: 1-line block ×3, first 2 shown]
	ds_load_2addr_b64 v[125:128], v68 offset0:6 offset1:231
	ds_load_2addr_b64 v[129:132], v73 offset0:12 offset1:237
	ds_load_b64 v[137:138], v116
	ds_load_2addr_b64 v[133:136], v72 offset0:8 offset1:233
	ds_load_b64 v[143:144], v119
	ds_load_b64 v[145:146], v115 offset:25200
	v_mul_u32_u24_e32 v67, 0x47af, v121
	s_delay_alu instid0(VALU_DEP_1) | instskip(NEXT) | instid1(VALU_DEP_1)
	v_lshrrev_b32_e32 v67, 16, v67
	v_sub_nc_u16 v71, v109, v67
	s_delay_alu instid0(VALU_DEP_1) | instskip(NEXT) | instid1(VALU_DEP_1)
	v_lshrrev_b16 v71, 1, v71
	v_add_nc_u16 v67, v71, v67
	s_wait_loadcnt_dscnt 0xa05
	v_mul_f64_e32 v[94:95], v[127:128], v[41:42]
	v_mul_f64_e32 v[69:70], v[125:126], v[37:38]
	;; [unrolled: 1-line block ×4, first 2 shown]
	s_wait_loadcnt_dscnt 0x904
	v_mul_f64_e32 v[139:140], v[129:130], v[45:46]
	v_mul_f64_e32 v[45:46], v[4:5], v[45:46]
	s_wait_loadcnt 0x8
	v_mul_f64_e32 v[141:142], v[131:132], v[49:50]
	v_mul_f64_e32 v[49:50], v[6:7], v[49:50]
	s_wait_loadcnt_dscnt 0x703
	v_mul_f64_e32 v[147:148], v[137:138], v[53:54]
	v_mul_f64_e32 v[53:54], v[78:79], v[53:54]
	s_wait_loadcnt_dscnt 0x602
	v_mul_f64_e32 v[149:150], v[135:136], v[57:58]
	v_mul_f64_e32 v[57:58], v[2:3], v[57:58]
	v_fma_f64 v[94:95], v[10:11], v[39:40], -v[94:95]
	v_fma_f64 v[69:70], v[8:9], v[35:36], -v[69:70]
	v_fma_f64 v[125:126], v[125:126], v[35:36], v[37:38]
	ds_load_2addr_b64 v[8:11], v124 offset0:4 offset1:229
	ds_load_2addr_b64 v[35:38], v123 offset0:10 offset1:235
	v_fma_f64 v[39:40], v[127:128], v[39:40], v[41:42]
	v_fma_f64 v[41:42], v[4:5], v[43:44], -v[139:140]
	v_fma_f64 v[4:5], v[129:130], v[43:44], v[45:46]
	v_fma_f64 v[127:128], v[6:7], v[47:48], -v[141:142]
	v_fma_f64 v[6:7], v[131:132], v[47:48], v[49:50]
	s_wait_loadcnt 0x3
	v_mul_f64_e32 v[49:50], v[18:19], v[76:77]
	v_fma_f64 v[78:79], v[78:79], v[51:52], -v[147:148]
	v_fma_f64 v[51:52], v[137:138], v[51:52], v[53:54]
	s_wait_loadcnt_dscnt 0x2
	v_mul_f64_e32 v[131:132], v[145:146], v[92:93]
	v_fma_f64 v[2:3], v[2:3], v[55:56], -v[149:150]
	v_fma_f64 v[55:56], v[135:136], v[55:56], v[57:58]
	v_mul_f64_e32 v[57:58], v[26:27], v[92:93]
	ds_load_b64 v[43:44], v115
	s_wait_dscnt 0x2
	v_mul_f64_e32 v[45:46], v[8:9], v[61:62]
	v_mul_f64_e32 v[61:62], v[16:17], v[61:62]
	s_wait_dscnt 0x1
	v_mul_f64_e32 v[129:130], v[35:36], v[65:66]
	v_mul_f64_e32 v[65:66], v[12:13], v[65:66]
	;; [unrolled: 1-line block ×7, first 2 shown]
	v_fma_f64 v[10:11], v[10:11], v[74:75], v[49:50]
	v_add_f64_e32 v[151:152], v[78:79], v[41:42]
	v_add_f64_e64 v[49:50], v[78:79], -v[69:70]
	v_fma_f64 v[26:27], v[26:27], v[90:91], -v[131:132]
	v_add_f64_e32 v[149:150], v[69:70], v[2:3]
	v_add_f64_e32 v[153:154], v[125:126], v[55:56]
	v_fma_f64 v[16:17], v[16:17], v[59:60], -v[45:46]
	v_fma_f64 v[8:9], v[8:9], v[59:60], v[61:62]
	v_fma_f64 v[12:13], v[12:13], v[63:64], -v[129:130]
	v_fma_f64 v[35:36], v[35:36], v[63:64], v[65:66]
	v_fma_f64 v[18:19], v[18:19], v[74:75], -v[47:48]
	v_fma_f64 v[0:1], v[0:1], v[82:83], -v[76:77]
	;; [unrolled: 1-line block ×3, first 2 shown]
	v_fma_f64 v[45:46], v[133:134], v[82:83], v[84:85]
	v_fma_f64 v[37:38], v[37:38], v[86:87], v[88:89]
	;; [unrolled: 1-line block ×3, first 2 shown]
	v_add_f64_e64 v[65:66], v[125:126], -v[51:52]
	v_add_f64_e64 v[74:75], v[55:56], -v[4:5]
	;; [unrolled: 1-line block ×7, first 2 shown]
	v_fma_f64 v[149:150], v[149:150], -0.5, v[20:21]
	v_add_f64_e64 v[76:77], v[16:17], -v[94:95]
	v_add_f64_e64 v[84:85], v[94:95], -v[16:17]
	;; [unrolled: 1-line block ×16, first 2 shown]
	v_add_f64_e32 v[65:66], v[65:66], v[74:75]
	v_add_f64_e32 v[74:75], v[39:40], v[35:36]
	;; [unrolled: 1-line block ×13, first 2 shown]
	v_fma_f64 v[20:21], v[151:152], -0.5, v[20:21]
	ds_load_b64 v[151:152], v120
	s_wait_dscnt 0x1
	v_add_f64_e32 v[86:87], v[43:44], v[51:52]
	v_add_f64_e32 v[131:132], v[131:132], v[133:134]
	;; [unrolled: 1-line block ×11, first 2 shown]
	v_fma_f64 v[74:75], v[74:75], -0.5, v[143:144]
	v_fma_f64 v[59:60], v[59:60], -0.5, v[24:25]
	v_add_f64_e64 v[8:9], v[8:9], -v[6:7]
	v_fma_f64 v[24:25], v[63:64], -0.5, v[24:25]
	v_fma_f64 v[153:154], v[153:154], -0.5, v[43:44]
	;; [unrolled: 1-line block ×3, first 2 shown]
	v_add_f64_e32 v[53:54], v[45:46], v[37:38]
	v_add_f64_e32 v[63:64], v[10:11], v[47:48]
	v_add_f64_e64 v[51:52], v[51:52], -v[4:5]
	v_add_f64_e64 v[78:79], v[78:79], -v[41:42]
	;; [unrolled: 1-line block ×4, first 2 shown]
	global_wb scope:SCOPE_SE
	s_wait_dscnt 0x0
	s_barrier_signal -1
	s_barrier_wait -1
	global_inv scope:SCOPE_SE
	v_fma_f64 v[82:83], v[82:83], -0.5, v[143:144]
	v_add_f64_e32 v[143:144], v[151:152], v[10:11]
	v_add_f64_e64 v[10:11], v[10:11], -v[47:48]
	v_add_f64_e32 v[90:91], v[90:91], v[69:70]
	v_add_f64_e64 v[69:70], v[69:70], -v[2:3]
	;; [unrolled: 2-line block ×5, first 2 shown]
	v_fma_f64 v[137:138], v[137:138], -0.5, v[22:23]
	v_fma_f64 v[22:23], v[141:142], -0.5, v[22:23]
	v_add_f64_e32 v[141:142], v[147:148], v[0:1]
	v_add_f64_e64 v[147:148], v[45:46], -v[37:38]
	v_add_f64_e64 v[0:1], v[0:1], -v[14:15]
	v_fma_f64 v[53:54], v[53:54], -0.5, v[151:152]
	v_fma_f64 v[63:64], v[63:64], -0.5, v[151:152]
	v_fma_f64 v[151:152], v[51:52], s[2:3], v[149:150]
	v_fma_f64 v[155:156], v[78:79], s[6:7], v[153:154]
	;; [unrolled: 1-line block ×4, first 2 shown]
	v_add_f64_e32 v[45:46], v[143:144], v[45:46]
	v_add_f64_e32 v[2:3], v[90:91], v[2:3]
	v_fma_f64 v[90:91], v[8:9], s[2:3], v[59:60]
	v_fma_f64 v[59:60], v[8:9], s[6:7], v[59:60]
	v_add_f64_e32 v[55:56], v[86:87], v[55:56]
	v_fma_f64 v[143:144], v[125:126], s[6:7], v[20:21]
	v_fma_f64 v[20:21], v[125:126], s[2:3], v[20:21]
	;; [unrolled: 1-line block ×4, first 2 shown]
	v_add_f64_e32 v[12:13], v[129:130], v[12:13]
	v_fma_f64 v[129:130], v[10:11], s[2:3], v[137:138]
	v_fma_f64 v[137:138], v[10:11], s[6:7], v[137:138]
	v_add_f64_e32 v[35:36], v[133:134], v[35:36]
	v_add_f64_e32 v[14:15], v[141:142], v[14:15]
	v_fma_f64 v[141:142], v[147:148], s[6:7], v[22:23]
	v_fma_f64 v[22:23], v[147:148], s[2:3], v[22:23]
	;; [unrolled: 1-line block ×4, first 2 shown]
	v_lshrrev_b16 v126, 10, v28
	v_lshrrev_b16 v125, 4, v67
	s_delay_alu instid0(VALU_DEP_2) | instskip(NEXT) | instid1(VALU_DEP_2)
	v_mul_lo_u16 v28, v126, 25
	v_mul_lo_u16 v67, v125, 25
	v_and_b32_e32 v126, 0xffff, v126
	v_and_b32_e32 v125, 0xffff, v125
	s_delay_alu instid0(VALU_DEP_4)
	v_sub_nc_u16 v28, v99, v28
	v_add_f64_e32 v[37:38], v[45:46], v[37:38]
	v_fma_f64 v[45:46], v[69:70], s[12:13], v[153:154]
	v_add_f64_e32 v[2:3], v[2:3], v[41:42]
	v_fma_f64 v[90:91], v[39:40], s[12:13], v[90:91]
	v_fma_f64 v[39:40], v[39:40], s[14:15], v[59:60]
	;; [unrolled: 1-line block ×21, first 2 shown]
	v_add_f64_e32 v[14:15], v[14:15], v[26:27]
	v_add_f64_e32 v[12:13], v[12:13], v[127:128]
	v_and_b32_e32 v128, 0xff, v28
	v_lshlrev_b32_e32 v28, 3, v29
	v_lshlrev_b32_e32 v29, 3, v31
	;; [unrolled: 1-line block ×3, first 2 shown]
	v_sub_nc_u16 v67, v109, v67
	v_mul_u32_u24_e32 v126, 0x3e8, v126
	v_add3_u32 v71, 0, v30, v28
	s_delay_alu instid0(VALU_DEP_3)
	v_and_b32_e32 v127, 0xffff, v67
	v_lshlrev_b32_e32 v67, 6, v128
	v_lshlrev_b32_e32 v128, 3, v128
	v_fma_f64 v[39:40], v[76:77], s[16:17], v[39:40]
	v_fma_f64 v[59:60], v[94:95], s[14:15], v[59:60]
	v_fma_f64 v[20:21], v[57:58], s[16:17], v[20:21]
	v_fma_f64 v[51:52], v[78:79], s[14:15], v[51:52]
	v_fma_f64 v[43:44], v[78:79], s[12:13], v[43:44]
	v_fma_f64 v[8:9], v[84:85], s[16:17], v[8:9]
	v_fma_f64 v[24:25], v[16:17], s[14:15], v[24:25]
	v_fma_f64 v[16:17], v[16:17], s[12:13], v[82:83]
	v_fma_f64 v[69:70], v[94:95], s[12:13], v[74:75]
	v_add3_u32 v94, 0, v32, v29
	v_add3_u32 v95, 0, v34, v31
	v_fma_f64 v[26:27], v[0:1], s[14:15], v[147:148]
	v_add_f64_e32 v[28:29], v[55:56], v[4:5]
	v_add_f64_e32 v[30:31], v[35:36], v[6:7]
	v_fma_f64 v[22:23], v[18:19], s[14:15], v[22:23]
	v_fma_f64 v[18:19], v[18:19], s[12:13], v[63:64]
	;; [unrolled: 1-line block ×7, first 2 shown]
	v_add_f64_e32 v[32:33], v[37:38], v[47:48]
	v_fma_f64 v[36:37], v[61:62], s[16:17], v[45:46]
	v_fma_f64 v[57:58], v[76:77], s[16:17], v[90:91]
	;; [unrolled: 1-line block ×7, first 2 shown]
	v_lshlrev_b32_e32 v131, 6, v127
	ds_store_2addr_b64 v71, v[2:3], v[53:54] offset1:5
	ds_store_2addr_b64 v71, v[63:64], v[20:21] offset0:10 offset1:15
	ds_store_b64 v71, v[49:50] offset:160
	ds_store_2addr_b64 v94, v[12:13], v[57:58] offset1:5
	ds_store_2addr_b64 v94, v[74:75], v[8:9] offset0:10 offset1:15
	ds_store_b64 v94, v[39:40] offset:160
	;; [unrolled: 3-line block ×3, first 2 shown]
	v_fma_f64 v[41:42], v[65:66], s[16:17], v[51:52]
	v_fma_f64 v[43:44], v[65:66], s[16:17], v[43:44]
	;; [unrolled: 1-line block ×10, first 2 shown]
	global_wb scope:SCOPE_SE
	s_wait_dscnt 0x0
	s_barrier_signal -1
	s_barrier_wait -1
	global_inv scope:SCOPE_SE
	ds_load_b64 v[86:87], v115
	ds_load_2addr_b64 v[16:19], v68 offset0:6 offset1:231
	ds_load_2addr_b64 v[0:3], v72 offset0:8 offset1:233
	ds_load_2addr_b64 v[12:15], v73 offset0:12 offset1:237
	ds_load_2addr_b64 v[8:11], v124 offset0:4 offset1:229
	ds_load_2addr_b64 v[4:7], v123 offset0:10 offset1:235
	ds_load_b64 v[82:83], v120
	ds_load_b64 v[84:85], v119
	;; [unrolled: 1-line block ×3, first 2 shown]
	ds_load_b64 v[88:89], v115 offset:25200
	global_wb scope:SCOPE_SE
	s_wait_dscnt 0x0
	s_barrier_signal -1
	s_barrier_wait -1
	global_inv scope:SCOPE_SE
	ds_store_2addr_b64 v71, v[28:29], v[34:35] offset1:5
	ds_store_2addr_b64 v71, v[41:42], v[43:44] offset0:10 offset1:15
	ds_store_b64 v71, v[36:37] offset:160
	ds_store_2addr_b64 v94, v[30:31], v[45:46] offset1:5
	ds_store_2addr_b64 v94, v[24:25], v[51:52] offset0:10 offset1:15
	ds_store_b64 v94, v[47:48] offset:160
	;; [unrolled: 3-line block ×3, first 2 shown]
	global_wb scope:SCOPE_SE
	s_wait_dscnt 0x0
	s_barrier_signal -1
	s_barrier_wait -1
	global_inv scope:SCOPE_SE
	s_clause 0x1
	global_load_b128 v[20:23], v67, s[4:5] offset:336
	global_load_b128 v[24:27], v131, s[4:5] offset:336
	v_mul_u32_u24_e32 v28, 0x47af, v122
	s_clause 0x1
	global_load_b128 v[56:59], v67, s[4:5] offset:320
	global_load_b128 v[48:51], v67, s[4:5] offset:368
	v_lshrrev_b32_e32 v28, 16, v28
	s_delay_alu instid0(VALU_DEP_1) | instskip(NEXT) | instid1(VALU_DEP_1)
	v_sub_nc_u16 v29, v110, v28
	v_lshrrev_b16 v29, 1, v29
	s_delay_alu instid0(VALU_DEP_1) | instskip(SKIP_4) | instid1(VALU_DEP_1)
	v_add_nc_u16 v32, v29, v28
	s_clause 0x1
	global_load_b128 v[28:31], v131, s[4:5] offset:368
	global_load_b128 v[36:39], v67, s[4:5] offset:352
	v_lshrrev_b16 v130, 4, v32
	v_mul_lo_u16 v32, v130, 25
	v_and_b32_e32 v130, 0xffff, v130
	s_delay_alu instid0(VALU_DEP_2) | instskip(NEXT) | instid1(VALU_DEP_1)
	v_sub_nc_u16 v32, v110, v32
	v_and_b32_e32 v129, 0xffff, v32
	s_delay_alu instid0(VALU_DEP_1)
	v_lshlrev_b32_e32 v64, 6, v129
	s_clause 0x5
	global_load_b128 v[40:43], v131, s[4:5] offset:320
	global_load_b128 v[44:47], v131, s[4:5] offset:352
	;; [unrolled: 1-line block ×6, first 2 shown]
	ds_load_2addr_b64 v[68:71], v68 offset0:6 offset1:231
	ds_load_b64 v[131:132], v116
	ds_load_2addr_b64 v[76:79], v73 offset0:12 offset1:237
	ds_load_2addr_b64 v[72:75], v72 offset0:8 offset1:233
	ds_load_b64 v[133:134], v119
	ds_load_b64 v[135:136], v115 offset:25200
	s_wait_loadcnt_dscnt 0xb05
	v_mul_f64_e32 v[92:93], v[68:69], v[22:23]
	v_mul_f64_e32 v[94:95], v[16:17], v[22:23]
	s_wait_loadcnt 0xa
	v_mul_f64_e32 v[22:23], v[70:71], v[26:27]
	v_mul_f64_e32 v[26:27], v[18:19], v[26:27]
	s_wait_loadcnt_dscnt 0x904
	v_mul_f64_e32 v[137:138], v[131:132], v[58:59]
	v_mul_f64_e32 v[58:59], v[90:91], v[58:59]
	s_wait_loadcnt_dscnt 0x803
	v_mul_f64_e32 v[139:140], v[76:77], v[50:51]
	v_mul_f64_e32 v[50:51], v[12:13], v[50:51]
	s_wait_loadcnt 0x7
	v_mul_f64_e32 v[141:142], v[78:79], v[30:31]
	s_wait_loadcnt_dscnt 0x602
	v_mul_f64_e32 v[143:144], v[74:75], v[38:39]
	v_mul_f64_e32 v[30:31], v[14:15], v[30:31]
	v_fma_f64 v[145:146], v[16:17], v[20:21], -v[92:93]
	v_mul_f64_e32 v[16:17], v[2:3], v[38:39]
	v_fma_f64 v[68:69], v[68:69], v[20:21], v[94:95]
	ds_load_2addr_b64 v[92:95], v124 offset0:4 offset1:229
	v_fma_f64 v[38:39], v[18:19], v[24:25], -v[22:23]
	ds_load_2addr_b64 v[20:23], v123 offset0:10 offset1:235
	v_fma_f64 v[24:25], v[70:71], v[24:25], v[26:27]
	v_fma_f64 v[90:91], v[90:91], v[56:57], -v[137:138]
	v_fma_f64 v[58:59], v[131:132], v[56:57], v[58:59]
	v_fma_f64 v[18:19], v[12:13], v[48:49], -v[139:140]
	s_wait_loadcnt 0x2
	v_mul_f64_e32 v[131:132], v[72:73], v[54:55]
	v_fma_f64 v[12:13], v[76:77], v[48:49], v[50:51]
	v_mul_f64_e32 v[48:49], v[0:1], v[54:55]
	s_wait_loadcnt_dscnt 0x2
	v_mul_f64_e32 v[54:55], v[135:136], v[66:67]
	ds_load_b64 v[26:27], v115
	v_fma_f64 v[14:15], v[14:15], v[28:29], -v[141:142]
	s_wait_dscnt 0x2
	v_mul_f64_e32 v[70:71], v[92:93], v[42:43]
	v_mul_f64_e32 v[42:43], v[8:9], v[42:43]
	s_wait_dscnt 0x1
	v_mul_f64_e32 v[123:124], v[20:21], v[46:47]
	v_mul_f64_e32 v[56:57], v[94:95], v[34:35]
	;; [unrolled: 1-line block ×5, first 2 shown]
	v_fma_f64 v[76:77], v[2:3], v[36:37], -v[143:144]
	v_fma_f64 v[2:3], v[78:79], v[28:29], v[30:31]
	v_fma_f64 v[36:37], v[74:75], v[36:37], v[16:17]
	v_mul_f64_e32 v[16:17], v[6:7], v[62:63]
	v_mul_f64_e32 v[62:63], v[88:89], v[66:67]
	v_add_f64_e32 v[143:144], v[90:91], v[18:19]
	v_fma_f64 v[30:31], v[0:1], v[52:53], -v[131:132]
	v_add_f64_e32 v[149:150], v[58:59], v[12:13]
	v_fma_f64 v[8:9], v[8:9], v[40:41], -v[70:71]
	v_fma_f64 v[28:29], v[92:93], v[40:41], v[42:43]
	v_fma_f64 v[66:67], v[4:5], v[44:45], -v[123:124]
	v_fma_f64 v[10:11], v[10:11], v[32:33], -v[56:57]
	v_fma_f64 v[4:5], v[88:89], v[64:65], -v[54:55]
	v_fma_f64 v[20:21], v[20:21], v[44:45], v[46:47]
	v_fma_f64 v[6:7], v[6:7], v[60:61], -v[50:51]
	v_fma_f64 v[32:33], v[94:95], v[32:33], v[34:35]
	v_fma_f64 v[34:35], v[72:73], v[52:53], v[48:49]
	v_add_f64_e64 v[40:41], v[90:91], -v[145:146]
	v_add_f64_e64 v[42:43], v[18:19], -v[76:77]
	;; [unrolled: 1-line block ×6, first 2 shown]
	v_add_f64_e32 v[141:142], v[145:146], v[76:77]
	v_add_f64_e64 v[50:51], v[12:13], -v[36:37]
	v_fma_f64 v[22:23], v[22:23], v[60:61], v[16:17]
	v_fma_f64 v[0:1], v[135:136], v[64:65], v[62:63]
	v_add_f64_e64 v[54:55], v[36:37], -v[12:13]
	v_add_f64_e32 v[147:148], v[68:69], v[36:37]
	v_and_b32_e32 v124, 0xffff, v111
	v_dual_mov_b32 v57, 0 :: v_dual_add_nc_u32 v16, 0xffffff83, v99
	s_delay_alu instid0(VALU_DEP_2) | instskip(SKIP_1) | instid1(VALU_DEP_2)
	v_mul_u32_u24_e32 v161, 0x625, v124
	s_wait_alu 0xf1ff
	v_cndmask_b32_e64 v123, v16, v99, s0
	v_mul_u32_u24_e32 v124, 0x5d87, v124
	s_delay_alu instid0(VALU_DEP_2) | instskip(NEXT) | instid1(VALU_DEP_1)
	v_lshlrev_b32_e32 v56, 1, v123
	v_lshlrev_b64_e32 v[16:17], 4, v[56:57]
	v_add_f64_e64 v[60:61], v[8:9], -v[38:39]
	v_add_f64_e64 v[64:65], v[38:39], -v[8:9]
	;; [unrolled: 1-line block ×13, first 2 shown]
	v_add_f64_e32 v[153:154], v[38:39], v[66:67]
	v_add_f64_e32 v[40:41], v[40:41], v[42:43]
	;; [unrolled: 1-line block ×5, first 2 shown]
	v_add_f64_e64 v[139:140], v[22:23], -v[0:1]
	v_add_f64_e32 v[48:49], v[48:49], v[50:51]
	v_add_f64_e32 v[50:51], v[10:11], v[4:5]
	;; [unrolled: 1-line block ×3, first 2 shown]
	ds_load_b64 v[54:55], v120
	s_wait_dscnt 0x1
	v_add_f64_e32 v[151:152], v[26:27], v[58:59]
	v_add_f64_e64 v[58:59], v[58:59], -v[12:13]
	v_and_b32_e32 v56, 0xffff, v112
	global_wb scope:SCOPE_SE
	s_wait_dscnt 0x0
	s_barrier_signal -1
	s_barrier_wait -1
	global_inv scope:SCOPE_SE
	v_add_co_u32 v16, s0, s4, v16
	s_wait_alu 0xf1ff
	v_add_co_ci_u32_e64 v17, s0, s5, v17, s0
	v_cmp_lt_u32_e64 s0, 0x7c, v99
	v_add_f64_e32 v[60:61], v[60:61], v[62:63]
	v_add_f64_e32 v[62:63], v[86:87], v[90:91]
	;; [unrolled: 1-line block ×7, first 2 shown]
	v_add_f64_e64 v[88:89], v[32:33], -v[34:35]
	v_add_f64_e32 v[155:156], v[92:93], v[94:95]
	v_add_f64_e32 v[92:93], v[82:83], v[10:11]
	;; [unrolled: 1-line block ×4, first 2 shown]
	v_add_f64_e64 v[8:9], v[8:9], -v[14:15]
	v_fma_f64 v[42:43], v[42:43], -0.5, v[84:85]
	v_add_f64_e64 v[10:11], v[10:11], -v[4:5]
	v_fma_f64 v[46:47], v[46:47], -0.5, v[82:83]
	v_add_f64_e32 v[135:136], v[137:138], v[139:140]
	v_add_f64_e64 v[137:138], v[0:1], -v[22:23]
	v_fma_f64 v[139:140], v[141:142], -0.5, v[86:87]
	v_fma_f64 v[86:87], v[143:144], -0.5, v[86:87]
	;; [unrolled: 1-line block ×3, first 2 shown]
	v_add_f64_e32 v[147:148], v[24:25], v[20:21]
	v_add_f64_e64 v[141:142], v[68:69], -v[36:37]
	v_fma_f64 v[26:27], v[149:150], -0.5, v[26:27]
	v_add_f64_e32 v[149:150], v[28:29], v[2:3]
	v_add_f64_e32 v[68:69], v[151:152], v[68:69]
	v_fma_f64 v[151:152], v[153:154], -0.5, v[84:85]
	v_add_f64_e32 v[84:85], v[34:35], v[22:23]
	v_fma_f64 v[50:51], v[50:51], -0.5, v[82:83]
	v_add_f64_e32 v[82:83], v[32:33], v[0:1]
	v_add_f64_e64 v[153:154], v[90:91], -v[18:19]
	v_add_f64_e64 v[28:29], v[28:29], -v[2:3]
	;; [unrolled: 1-line block ×3, first 2 shown]
	v_add_f64_e32 v[62:63], v[62:63], v[145:146]
	v_add_f64_e64 v[145:146], v[145:146], -v[76:77]
	v_add_f64_e32 v[70:71], v[70:71], v[38:39]
	v_add_f64_e64 v[38:39], v[38:39], -v[66:67]
	;; [unrolled: 2-line block ×5, first 2 shown]
	v_add_f64_e32 v[88:89], v[88:89], v[137:138]
	v_fma_f64 v[94:95], v[58:59], s[2:3], v[139:140]
	v_fma_f64 v[137:138], v[58:59], s[6:7], v[139:140]
	v_fma_f64 v[139:140], v[147:148], -0.5, v[133:134]
	v_fma_f64 v[147:148], v[141:142], s[6:7], v[86:87]
	v_fma_f64 v[86:87], v[141:142], s[2:3], v[86:87]
	v_fma_f64 v[133:134], v[149:150], -0.5, v[133:134]
	v_add_f64_e32 v[36:37], v[68:69], v[36:37]
	v_fma_f64 v[84:85], v[84:85], -0.5, v[54:55]
	v_fma_f64 v[54:55], v[82:83], -0.5, v[54:55]
	v_fma_f64 v[82:83], v[153:154], s[6:7], v[143:144]
	v_fma_f64 v[143:144], v[153:154], s[2:3], v[143:144]
	;; [unrolled: 1-line block ×4, first 2 shown]
	v_add_f64_e32 v[62:63], v[62:63], v[76:77]
	v_fma_f64 v[76:77], v[145:146], s[2:3], v[26:27]
	v_add_f64_e32 v[66:67], v[70:71], v[66:67]
	v_fma_f64 v[26:27], v[145:146], s[6:7], v[26:27]
	;; [unrolled: 2-line block ×3, first 2 shown]
	v_fma_f64 v[42:43], v[24:25], s[2:3], v[42:43]
	v_fma_f64 v[74:75], v[32:33], s[2:3], v[46:47]
	;; [unrolled: 1-line block ×3, first 2 shown]
	v_add_f64_e32 v[6:7], v[90:91], v[6:7]
	v_add_f64_e32 v[22:23], v[92:93], v[22:23]
	v_fma_f64 v[151:152], v[34:35], s[6:7], v[50:51]
	v_fma_f64 v[50:51], v[34:35], s[2:3], v[50:51]
	v_add_nc_u32_e32 v93, 0x2300, v115
	v_add_nc_u32_e32 v91, 0x4d00, v115
	;; [unrolled: 1-line block ×3, first 2 shown]
	v_lshl_add_u32 v90, v112, 3, 0
	v_fma_f64 v[157:158], v[141:142], s[12:13], v[94:95]
	v_fma_f64 v[137:138], v[141:142], s[14:15], v[137:138]
	v_add_nc_u32_e32 v95, 0x3f00, v115
	v_fma_f64 v[141:142], v[8:9], s[6:7], v[139:140]
	v_fma_f64 v[139:140], v[8:9], s[2:3], v[139:140]
	;; [unrolled: 1-line block ×6, first 2 shown]
	v_add_f64_e32 v[12:13], v[36:37], v[12:13]
	v_add_nc_u32_e32 v94, 0x5b00, v115
	v_fma_f64 v[121:122], v[30:31], s[2:3], v[54:55]
	v_fma_f64 v[82:83], v[145:146], s[14:15], v[82:83]
	;; [unrolled: 1-line block ×8, first 2 shown]
	v_lshrrev_b32_e32 v150, 16, v159
	v_mul_u32_u24_e32 v149, 0x625, v56
	v_add_f64_e32 v[18:19], v[62:63], v[18:19]
	v_fma_f64 v[76:77], v[153:154], s[14:15], v[76:77]
	v_add_f64_e32 v[14:15], v[66:67], v[14:15]
	v_fma_f64 v[26:27], v[153:154], s[12:13], v[26:27]
	;; [unrolled: 2-line block ×3, first 2 shown]
	v_fma_f64 v[28:29], v[28:29], s[14:15], v[42:43]
	v_fma_f64 v[42:43], v[34:35], s[12:13], v[74:75]
	;; [unrolled: 1-line block ×3, first 2 shown]
	v_add_f64_e32 v[4:5], v[6:7], v[4:5]
	v_add_f64_e32 v[0:1], v[22:23], v[0:1]
	v_fma_f64 v[46:47], v[32:33], s[12:13], v[151:152]
	v_fma_f64 v[32:33], v[32:33], s[14:15], v[50:51]
	v_lshrrev_b32_e32 v152, 16, v161
	v_lshrrev_b32_e32 v151, 16, v160
	;; [unrolled: 1-line block ×3, first 2 shown]
	v_lshlrev_b32_e32 v66, 3, v127
	v_lshlrev_b32_e32 v67, 3, v129
	v_mul_u32_u24_e32 v56, 0x5d87, v56
	s_mov_b32 s2, 0xe8584caa
	v_fma_f64 v[50:51], v[38:39], s[14:15], v[141:142]
	v_fma_f64 v[38:39], v[38:39], s[12:13], v[139:140]
	v_sub_nc_u16 v139, v109, v150
	v_fma_f64 v[62:63], v[44:45], s[16:17], v[147:148]
	v_fma_f64 v[74:75], v[8:9], s[14:15], v[86:87]
	v_sub_nc_u16 v86, v111, v152
	v_fma_f64 v[8:9], v[8:9], s[12:13], v[133:134]
	v_lshrrev_b16 v87, 1, v139
	v_fma_f64 v[44:45], v[44:45], s[16:17], v[58:59]
	v_fma_f64 v[20:21], v[48:49], s[16:17], v[82:83]
	v_lshrrev_b16 v154, 1, v86
	v_fma_f64 v[6:7], v[30:31], s[14:15], v[145:146]
	v_add_nc_u16 v134, v87, v150
	v_fma_f64 v[86:87], v[10:11], s[14:15], v[121:122]
	v_fma_f64 v[10:11], v[10:11], s[12:13], v[54:55]
	;; [unrolled: 1-line block ×14, first 2 shown]
	v_sub_nc_u16 v140, v110, v151
	v_mul_u32_u24_e32 v64, 0x3e8, v125
	v_fma_f64 v[46:47], v[131:132], s[16:17], v[46:47]
	v_fma_f64 v[32:33], v[131:132], s[16:17], v[32:33]
	v_sub_nc_u16 v153, v112, v149
	v_lshrrev_b16 v133, 1, v140
	v_mul_u32_u24_e32 v65, 0x3e8, v130
	v_add3_u32 v69, 0, v126, v128
	v_add3_u32 v125, 0, v64, v66
	v_lshrrev_b16 v121, 6, v134
	v_add_nc_u16 v68, v133, v151
	v_fma_f64 v[48:49], v[72:73], s[16:17], v[50:51]
	v_fma_f64 v[38:39], v[72:73], s[16:17], v[38:39]
	v_add3_u32 v126, 0, v65, v67
	ds_store_2addr_b64 v69, v[18:19], v[54:55] offset1:25
	ds_store_2addr_b64 v69, v[62:63], v[44:45] offset0:50 offset1:75
	ds_store_b64 v69, v[40:41] offset:800
	ds_store_2addr_b64 v125, v[14:15], v[58:59] offset1:25
	ds_store_2addr_b64 v125, v[60:61], v[28:29] offset0:50 offset1:75
	ds_store_b64 v125, v[24:25] offset:800
	;; [unrolled: 3-line block ×3, first 2 shown]
	v_fma_f64 v[50:51], v[78:79], s[16:17], v[74:75]
	v_fma_f64 v[8:9], v[78:79], s[16:17], v[8:9]
	;; [unrolled: 1-line block ×6, first 2 shown]
	global_wb scope:SCOPE_SE
	s_wait_dscnt 0x0
	s_barrier_signal -1
	s_barrier_wait -1
	global_inv scope:SCOPE_SE
	ds_load_2addr_b64 v[70:73], v93 offset0:5 offset1:230
	ds_load_2addr_b64 v[131:134], v95 offset0:9 offset1:234
	ds_load_2addr_b64 v[82:85], v91 offset0:11 offset1:236
	ds_load_b64 v[58:59], v120
	ds_load_2addr_b64 v[135:138], v92 offset0:7 offset1:232
	ds_load_b64 v[64:65], v115
	ds_load_b64 v[60:61], v116
	ds_load_2addr_b64 v[139:142], v94 offset0:13 offset1:238
	ds_load_b64 v[66:67], v119
	ds_load_b64 v[62:63], v90
	global_wb scope:SCOPE_SE
	s_wait_dscnt 0x0
	s_barrier_signal -1
	s_barrier_wait -1
	global_inv scope:SCOPE_SE
	ds_store_2addr_b64 v69, v[12:13], v[20:21] offset1:25
	ds_store_2addr_b64 v69, v[36:37], v[26:27] offset0:50 offset1:75
	ds_store_b64 v69, v[22:23] offset:800
	ds_store_2addr_b64 v125, v[2:3], v[48:49] offset1:25
	ds_store_2addr_b64 v125, v[50:51], v[8:9] offset0:50 offset1:75
	ds_store_b64 v125, v[38:39] offset:800
	;; [unrolled: 3-line block ×3, first 2 shown]
	v_lshrrev_b16 v0, 1, v153
	v_add_nc_u16 v1, v154, v152
	v_lshrrev_b16 v129, 6, v68
	v_mul_lo_u16 v122, 0x7d, v121
	global_wb scope:SCOPE_SE
	s_wait_dscnt 0x0
	v_add_nc_u16 v0, v0, v149
	v_lshrrev_b16 v130, 6, v1
	v_mul_lo_u16 v1, 0x7d, v129
	v_sub_nc_u16 v2, v109, v122
	s_barrier_signal -1
	v_lshrrev_b16 v128, 6, v0
	v_mul_lo_u16 v0, 0x7d, v130
	v_sub_nc_u16 v1, v110, v1
	v_and_b32_e32 v122, 0xffff, v2
	s_barrier_wait -1
	v_mul_lo_u16 v3, 0x7d, v128
	v_sub_nc_u16 v0, v111, v0
	v_and_b32_e32 v125, 0xffff, v1
	v_lshlrev_b32_e32 v2, 5, v122
	global_inv scope:SCOPE_SE
	v_sub_nc_u16 v1, v112, v3
	global_load_b128 v[74:77], v[16:17], off offset:1920
	v_lshlrev_b32_e32 v8, 5, v125
	global_load_b128 v[24:27], v2, s[4:5] offset:1920
	v_and_b32_e32 v126, 0xffff, v0
	v_and_b32_e32 v127, 0xffff, v1
	s_clause 0x1
	global_load_b128 v[4:7], v2, s[4:5] offset:1936
	global_load_b128 v[0:3], v8, s[4:5] offset:1936
	v_and_b32_e32 v121, 0xffff, v121
	s_mov_b32 s3, 0x3febb67a
	v_lshlrev_b32_e32 v28, 5, v126
	v_lshlrev_b32_e32 v32, 5, v127
	s_clause 0x5
	global_load_b128 v[8:11], v8, s[4:5] offset:1920
	global_load_b128 v[12:15], v28, s[4:5] offset:1920
	global_load_b128 v[16:19], v[16:17], off offset:1936
	global_load_b128 v[20:23], v32, s[4:5] offset:1920
	global_load_b128 v[28:31], v28, s[4:5] offset:1936
	;; [unrolled: 1-line block ×3, first 2 shown]
	ds_load_2addr_b64 v[48:51], v93 offset0:5 offset1:230
	ds_load_2addr_b64 v[36:39], v91 offset0:11 offset1:236
	;; [unrolled: 1-line block ×5, first 2 shown]
	s_mov_b32 s7, 0xbfebb67a
	s_wait_alu 0xfffe
	s_mov_b32 s6, s2
	v_mul_u32_u24_e32 v121, 0xbb8, v121
	s_wait_loadcnt_dscnt 0x904
	v_mul_f64_e32 v[68:69], v[48:49], v[76:77]
	v_mul_f64_e32 v[76:77], v[70:71], v[76:77]
	s_wait_loadcnt 0x8
	v_mul_f64_e32 v[78:79], v[50:51], v[26:27]
	v_mul_f64_e32 v[88:89], v[72:73], v[26:27]
	s_wait_loadcnt_dscnt 0x703
	v_mul_f64_e32 v[86:87], v[36:37], v[6:7]
	s_wait_loadcnt 0x6
	v_mul_f64_e32 v[143:144], v[38:39], v[2:3]
	s_wait_loadcnt_dscnt 0x502
	v_mul_f64_e32 v[145:146], v[40:41], v[10:11]
	s_wait_loadcnt 0x4
	;; [unrolled: 4-line block ×4, first 2 shown]
	v_mul_f64_e32 v[155:156], v[54:55], v[34:35]
	v_mul_f64_e32 v[30:31], v[139:140], v[30:31]
	;; [unrolled: 1-line block ×4, first 2 shown]
	v_fma_f64 v[68:69], v[70:71], v[74:75], -v[68:69]
	v_fma_f64 v[48:49], v[48:49], v[74:75], v[76:77]
	v_mul_f64_e32 v[76:77], v[82:83], v[6:7]
	v_fma_f64 v[70:71], v[72:73], v[24:25], -v[78:79]
	v_fma_f64 v[26:27], v[82:83], v[4:5], -v[86:87]
	v_mul_f64_e32 v[86:87], v[133:134], v[18:19]
	v_mul_f64_e32 v[82:83], v[84:85], v[2:3]
	;; [unrolled: 1-line block ×3, first 2 shown]
	v_fma_f64 v[6:7], v[84:85], v[0:1], -v[143:144]
	v_mul_f64_e32 v[84:85], v[137:138], v[14:15]
	v_fma_f64 v[18:19], v[131:132], v[20:21], -v[151:152]
	v_fma_f64 v[74:75], v[135:136], v[8:9], -v[145:146]
	;; [unrolled: 1-line block ×6, first 2 shown]
	v_fma_f64 v[24:25], v[50:51], v[24:25], v[88:89]
	v_fma_f64 v[28:29], v[52:53], v[28:29], v[30:31]
	;; [unrolled: 1-line block ×4, first 2 shown]
	v_cndmask_b32_e64 v132, 0, 0xbb8, s0
	v_lshlrev_b32_e32 v88, 3, v123
	v_lshrrev_b32_e32 v123, 16, v124
	v_lshrrev_b32_e32 v124, 16, v56
	v_add_nc_u32_e32 v131, 0xffffff6a, v99
	v_cmp_gt_u32_e64 s0, 0x96, v99
	v_add3_u32 v140, 0, v132, v88
	v_sub_nc_u16 v132, v111, v123
	v_sub_nc_u16 v133, v112, v124
	v_mov_b32_e32 v51, v57
	s_wait_alu 0xf1ff
	v_cndmask_b32_e64 v131, v131, v109, s0
	v_lshlrev_b32_e32 v56, 1, v99
	v_lshrrev_b16 v132, 1, v132
	v_lshrrev_b16 v133, 1, v133
	v_and_b32_e32 v142, 0xffff, v129
	v_lshlrev_b32_e32 v50, 1, v131
	v_lshlrev_b64_e32 v[88:89], 4, v[56:57]
	v_add_nc_u32_e32 v56, 0x96, v56
	v_and_b32_e32 v143, 0xffff, v130
	v_fma_f64 v[4:5], v[36:37], v[4:5], v[76:77]
	v_lshlrev_b64_e32 v[50:51], 4, v[50:51]
	v_add_f64_e32 v[36:37], v[70:71], v[26:27]
	v_fma_f64 v[16:17], v[46:47], v[16:17], v[86:87]
	v_fma_f64 v[0:1], v[38:39], v[0:1], v[82:83]
	;; [unrolled: 1-line block ×3, first 2 shown]
	v_add_nc_u16 v46, v132, v123
	v_fma_f64 v[12:13], v[42:43], v[12:13], v[84:85]
	v_add_nc_u16 v47, v133, v124
	v_add_f64_e32 v[40:41], v[74:75], v[6:7]
	v_add_f64_e32 v[44:45], v[18:19], v[10:11]
	v_add_co_u32 v34, s0, s4, v50
	v_add_f64_e32 v[32:33], v[68:69], v[2:3]
	v_add_f64_e32 v[42:43], v[72:73], v[14:15]
	s_wait_alu 0xf1ff
	v_add_co_ci_u32_e64 v35, s0, s5, v51, s0
	v_add_f64_e32 v[134:135], v[22:23], v[30:31]
	v_lshlrev_b64_e32 v[38:39], 4, v[56:57]
	v_lshrrev_b16 v56, 8, v46
	v_lshrrev_b16 v141, 8, v47
	ds_load_b64 v[46:47], v120
	ds_load_b64 v[50:51], v115
	;; [unrolled: 1-line block ×5, first 2 shown]
	v_add_f64_e32 v[138:139], v[62:63], v[18:19]
	v_add_co_u32 v20, s0, s4, v88
	s_wait_alu 0xf1ff
	v_add_co_ci_u32_e64 v21, s0, s5, v89, s0
	v_add_f64_e32 v[78:79], v[64:65], v[68:69]
	v_add_f64_e32 v[84:85], v[66:67], v[70:71]
	;; [unrolled: 1-line block ×4, first 2 shown]
	v_add_f64_e64 v[72:73], v[72:73], -v[14:15]
	v_add_f64_e64 v[18:19], v[18:19], -v[10:11]
	v_add_co_u32 v38, s0, s4, v38
	s_wait_alu 0xf1ff
	v_add_co_ci_u32_e64 v39, s0, s5, v39, s0
	global_wb scope:SCOPE_SE
	s_wait_dscnt 0x0
	v_add_f64_e32 v[86:87], v[24:25], v[4:5]
	s_barrier_signal -1
	v_fma_f64 v[36:37], v[36:37], -0.5, v[66:67]
	v_add_f64_e32 v[82:83], v[48:49], v[16:17]
	v_add_f64_e64 v[136:137], v[48:49], -v[16:17]
	v_add_f64_e32 v[123:124], v[8:9], v[0:1]
	v_add_f64_e64 v[66:67], v[8:9], -v[0:1]
	v_add_f64_e32 v[132:133], v[12:13], v[28:29]
	v_add_f64_e32 v[48:49], v[50:51], v[48:49]
	v_fma_f64 v[40:41], v[40:41], -0.5, v[58:59]
	v_fma_f64 v[44:45], v[44:45], -0.5, v[62:63]
	v_and_b32_e32 v62, 0xffff, v128
	v_mul_lo_u16 v63, 0x177, v56
	v_fma_f64 v[32:33], v[32:33], -0.5, v[64:65]
	v_add_f64_e64 v[64:65], v[24:25], -v[4:5]
	v_add_f64_e64 v[58:59], v[12:13], -v[28:29]
	v_fma_f64 v[42:43], v[42:43], -0.5, v[60:61]
	v_add_f64_e64 v[60:61], v[22:23], -v[30:31]
	v_mul_lo_u16 v128, 0x177, v141
	v_mul_u32_u24_e32 v141, 0xbb8, v142
	v_mul_u32_u24_e32 v142, 0xbb8, v143
	;; [unrolled: 1-line block ×3, first 2 shown]
	v_sub_nc_u16 v144, v111, v63
	v_add_f64_e64 v[62:63], v[68:69], -v[2:3]
	v_add_f64_e32 v[22:23], v[76:77], v[22:23]
	v_add_f64_e64 v[68:69], v[70:71], -v[26:27]
	v_add_f64_e32 v[24:25], v[54:55], v[24:25]
	;; [unrolled: 2-line block ×3, first 2 shown]
	v_add_f64_e32 v[12:13], v[52:53], v[12:13]
	v_fma_f64 v[74:75], v[134:135], -0.5, v[76:77]
	v_add_f64_e32 v[2:3], v[78:79], v[2:3]
	v_add_f64_e32 v[26:27], v[84:85], v[26:27]
	;; [unrolled: 1-line block ×5, first 2 shown]
	v_sub_nc_u16 v145, v112, v128
	v_and_b32_e32 v148, 0xffff, v144
	v_fma_f64 v[54:55], v[86:87], -0.5, v[54:55]
	s_barrier_wait -1
	global_inv scope:SCOPE_SE
	v_fma_f64 v[50:51], v[82:83], -0.5, v[50:51]
	v_lshlrev_b32_e32 v82, 3, v126
	v_fma_f64 v[46:47], v[123:124], -0.5, v[46:47]
	v_lshlrev_b32_e32 v83, 3, v127
	v_fma_f64 v[52:53], v[132:133], -0.5, v[52:53]
	v_add_f64_e32 v[48:49], v[48:49], v[16:17]
	v_and_b32_e32 v149, 0xffff, v145
	v_add3_u32 v82, 0, v142, v82
	v_add3_u32 v83, 0, v143, v83
	v_cmp_lt_u32_e64 s0, 0x95, v99
	v_fma_f64 v[76:77], v[136:137], s[2:3], v[32:33]
	v_fma_f64 v[78:79], v[64:65], s[2:3], v[36:37]
	s_wait_alu 0xfffe
	v_fma_f64 v[36:37], v[64:65], s[6:7], v[36:37]
	v_fma_f64 v[64:65], v[66:67], s[2:3], v[40:41]
	;; [unrolled: 1-line block ×7, first 2 shown]
	v_lshlrev_b32_e32 v60, 3, v122
	v_lshlrev_b32_e32 v61, 3, v125
	v_add_f64_e32 v[22:23], v[22:23], v[30:31]
	v_fma_f64 v[32:33], v[136:137], s[6:7], v[32:33]
	v_add_f64_e32 v[24:25], v[24:25], v[4:5]
	v_add3_u32 v84, 0, v121, v60
	v_add3_u32 v85, 0, v141, v61
	v_add_f64_e32 v[60:61], v[8:9], v[0:1]
	v_add_f64_e32 v[28:29], v[12:13], v[28:29]
	ds_store_2addr_b64 v140, v[2:3], v[76:77] offset1:125
	ds_store_b64 v140, v[32:33] offset:2000
	ds_store_2addr_b64 v84, v[26:27], v[78:79] offset1:125
	ds_store_b64 v84, v[36:37] offset:2000
	;; [unrolled: 2-line block ×5, first 2 shown]
	v_fma_f64 v[30:31], v[62:63], s[6:7], v[50:51]
	v_fma_f64 v[50:51], v[62:63], s[2:3], v[50:51]
	;; [unrolled: 1-line block ×10, first 2 shown]
	global_wb scope:SCOPE_SE
	s_wait_dscnt 0x0
	s_barrier_signal -1
	s_barrier_wait -1
	global_inv scope:SCOPE_SE
	ds_load_2addr_b64 v[0:3], v93 offset0:5 offset1:230
	ds_load_2addr_b64 v[4:7], v95 offset0:9 offset1:234
	;; [unrolled: 1-line block ×3, first 2 shown]
	ds_load_b64 v[78:79], v120
	ds_load_2addr_b64 v[12:15], v92 offset0:7 offset1:232
	ds_load_b64 v[121:122], v115
	ds_load_b64 v[123:124], v116
	ds_load_2addr_b64 v[16:19], v94 offset0:13 offset1:238
	ds_load_b64 v[125:126], v119
	ds_load_b64 v[127:128], v90
	global_wb scope:SCOPE_SE
	s_wait_dscnt 0x0
	s_barrier_signal -1
	s_barrier_wait -1
	global_inv scope:SCOPE_SE
	ds_store_2addr_b64 v140, v[48:49], v[30:31] offset1:125
	ds_store_b64 v140, v[50:51] offset:2000
	ds_store_2addr_b64 v84, v[24:25], v[62:63] offset1:125
	ds_store_b64 v84, v[54:55] offset:2000
	ds_store_2addr_b64 v85, v[60:61], v[68:69] offset1:125
	ds_store_b64 v85, v[46:47] offset:2000
	ds_store_2addr_b64 v82, v[28:29], v[70:71] offset1:125
	ds_store_b64 v82, v[52:53] offset:2000
	ds_store_2addr_b64 v83, v[22:23], v[72:73] offset1:125
	ds_store_b64 v83, v[74:75] offset:2000
	global_wb scope:SCOPE_SE
	s_wait_dscnt 0x0
	s_barrier_signal -1
	s_barrier_wait -1
	global_inv scope:SCOPE_SE
	s_clause 0x1
	global_load_b128 v[22:25], v[20:21], off offset:5920
	global_load_b128 v[26:29], v[34:35], off offset:5920
	v_lshlrev_b32_e32 v54, 5, v148
	s_clause 0x1
	global_load_b128 v[30:33], v[34:35], off offset:5936
	global_load_b128 v[34:37], v[38:39], off offset:5936
	v_lshlrev_b32_e32 v55, 5, v149
	s_clause 0x5
	global_load_b128 v[38:41], v[38:39], off offset:5920
	global_load_b128 v[42:45], v54, s[4:5] offset:5920
	global_load_b128 v[46:49], v[20:21], off offset:5936
	global_load_b128 v[50:53], v55, s[4:5] offset:5920
	global_load_b128 v[58:61], v54, s[4:5] offset:5936
	;; [unrolled: 1-line block ×3, first 2 shown]
	ds_load_2addr_b64 v[66:69], v93 offset0:5 offset1:230
	ds_load_2addr_b64 v[70:73], v91 offset0:11 offset1:236
	;; [unrolled: 1-line block ×5, first 2 shown]
	v_and_b32_e32 v56, 0xffff, v56
	s_delay_alu instid0(VALU_DEP_1)
	v_mul_u32_u24_e32 v56, 0x2328, v56
	s_wait_loadcnt_dscnt 0x904
	v_mul_f64_e32 v[54:55], v[66:67], v[24:25]
	s_wait_loadcnt 0x8
	v_mul_f64_e32 v[129:130], v[68:69], v[28:29]
	s_wait_loadcnt_dscnt 0x402
	v_mul_f64_e32 v[138:139], v[76:77], v[44:45]
	v_mul_f64_e32 v[134:135], v[72:73], v[36:37]
	s_wait_loadcnt_dscnt 0x201
	v_mul_f64_e32 v[142:143], v[82:83], v[52:53]
	;; [unrolled: 3-line block ×3, first 2 shown]
	v_mul_f64_e32 v[132:133], v[70:71], v[32:33]
	v_mul_f64_e32 v[136:137], v[74:75], v[40:41]
	;; [unrolled: 1-line block ×4, first 2 shown]
	v_fma_f64 v[0:1], v[0:1], v[22:23], -v[54:55]
	v_fma_f64 v[54:55], v[2:3], v[26:27], -v[129:130]
	v_mul_f64_e32 v[2:3], v[2:3], v[28:29]
	v_mul_f64_e32 v[28:29], v[8:9], v[32:33]
	v_fma_f64 v[32:33], v[10:11], v[34:35], -v[134:135]
	v_mul_f64_e32 v[10:11], v[10:11], v[36:37]
	v_mul_f64_e32 v[36:37], v[12:13], v[40:41]
	;; [unrolled: 3-line block ×4, first 2 shown]
	v_fma_f64 v[6:7], v[6:7], v[46:47], -v[140:141]
	v_fma_f64 v[60:61], v[18:19], v[62:63], -v[146:147]
	v_mul_f64_e32 v[18:19], v[18:19], v[64:65]
	v_fma_f64 v[8:9], v[8:9], v[30:31], -v[132:133]
	v_fma_f64 v[12:13], v[12:13], v[38:39], -v[136:137]
	;; [unrolled: 1-line block ×3, first 2 shown]
	v_fma_f64 v[22:23], v[66:67], v[22:23], v[24:25]
	v_lshlrev_b32_e32 v129, 3, v148
	s_delay_alu instid0(VALU_DEP_1)
	v_add3_u32 v56, 0, v56, v129
	v_fma_f64 v[2:3], v[68:69], v[26:27], v[2:3]
	v_fma_f64 v[26:27], v[70:71], v[30:31], v[28:29]
	;; [unrolled: 1-line block ×4, first 2 shown]
	v_add_f64_e32 v[74:75], v[121:122], v[0:1]
	v_fma_f64 v[14:15], v[76:77], v[42:43], v[14:15]
	v_fma_f64 v[24:25], v[84:85], v[46:47], v[44:45]
	;; [unrolled: 1-line block ×4, first 2 shown]
	v_add_f64_e32 v[34:35], v[0:1], v[6:7]
	v_add_f64_e32 v[44:45], v[48:49], v[60:61]
	v_fma_f64 v[18:19], v[88:89], v[62:63], v[18:19]
	v_add_f64_e32 v[36:37], v[54:55], v[8:9]
	v_add_f64_e32 v[38:39], v[12:13], v[32:33]
	;; [unrolled: 1-line block ×5, first 2 shown]
	ds_load_b64 v[50:51], v119
	ds_load_b64 v[52:53], v120
	;; [unrolled: 1-line block ×5, first 2 shown]
	v_add_f64_e64 v[0:1], v[0:1], -v[6:7]
	v_add_f64_e64 v[54:55], v[54:55], -v[8:9]
	;; [unrolled: 1-line block ×3, first 2 shown]
	global_wb scope:SCOPE_SE
	s_wait_dscnt 0x0
	s_barrier_signal -1
	s_barrier_wait -1
	global_inv scope:SCOPE_SE
	v_add_f64_e32 v[58:59], v[2:3], v[26:27]
	v_add_f64_e64 v[84:85], v[2:3], -v[26:27]
	v_add_f64_e32 v[2:3], v[50:51], v[2:3]
	v_add_f64_e32 v[62:63], v[28:29], v[10:11]
	v_add_f64_e64 v[88:89], v[28:29], -v[10:11]
	v_add_f64_e32 v[28:29], v[52:53], v[28:29]
	v_add_f64_e32 v[46:47], v[22:23], v[24:25]
	v_add_f64_e64 v[76:77], v[22:23], -v[24:25]
	v_add_f64_e32 v[22:23], v[66:67], v[22:23]
	v_add_f64_e32 v[64:65], v[14:15], v[30:31]
	v_fma_f64 v[34:35], v[34:35], -0.5, v[121:122]
	v_add_f64_e64 v[121:122], v[14:15], -v[30:31]
	v_add_f64_e32 v[72:73], v[4:5], v[18:19]
	v_fma_f64 v[36:37], v[36:37], -0.5, v[125:126]
	v_fma_f64 v[38:39], v[38:39], -0.5, v[78:79]
	v_add_f64_e32 v[78:79], v[123:124], v[40:41]
	v_fma_f64 v[42:43], v[42:43], -0.5, v[123:124]
	v_add_f64_e32 v[123:124], v[127:128], v[48:49]
	v_add_f64_e64 v[125:126], v[4:5], -v[18:19]
	v_fma_f64 v[44:45], v[44:45], -0.5, v[127:128]
	v_add_f64_e32 v[14:15], v[68:69], v[14:15]
	v_add_f64_e32 v[4:5], v[70:71], v[4:5]
	v_add_f64_e64 v[40:41], v[40:41], -v[16:17]
	v_add_f64_e32 v[6:7], v[74:75], v[6:7]
	v_add_f64_e64 v[48:49], v[48:49], -v[60:61]
	v_add_f64_e32 v[8:9], v[82:83], v[8:9]
	v_add_f64_e32 v[32:33], v[86:87], v[32:33]
	s_wait_alu 0xf1ff
	v_cndmask_b32_e64 v127, 0, 0x2328, s0
	v_lshlrev_b32_e32 v128, 3, v131
	v_fma_f64 v[50:51], v[58:59], -0.5, v[50:51]
	v_fma_f64 v[52:53], v[62:63], -0.5, v[52:53]
	;; [unrolled: 1-line block ×3, first 2 shown]
	v_add_f64_e32 v[74:75], v[22:23], v[24:25]
	v_fma_f64 v[58:59], v[64:65], -0.5, v[68:69]
	v_fma_f64 v[64:65], v[76:77], s[2:3], v[34:35]
	v_fma_f64 v[34:35], v[76:77], s[6:7], v[34:35]
	v_fma_f64 v[62:63], v[72:73], -0.5, v[70:71]
	v_fma_f64 v[66:67], v[84:85], s[2:3], v[36:37]
	v_fma_f64 v[36:37], v[84:85], s[6:7], v[36:37]
	;; [unrolled: 1-line block ×4, first 2 shown]
	v_add_f64_e32 v[16:17], v[78:79], v[16:17]
	v_fma_f64 v[70:71], v[121:122], s[2:3], v[42:43]
	v_fma_f64 v[42:43], v[121:122], s[6:7], v[42:43]
	v_add_f64_e32 v[60:61], v[123:124], v[60:61]
	v_fma_f64 v[72:73], v[125:126], s[2:3], v[44:45]
	v_fma_f64 v[44:45], v[125:126], s[6:7], v[44:45]
	v_add_f64_e32 v[76:77], v[2:3], v[26:27]
	v_add_f64_e32 v[78:79], v[28:29], v[10:11]
	v_add3_u32 v124, 0, v127, v128
	v_add_f64_e32 v[82:83], v[14:15], v[30:31]
	v_lshl_add_u32 v123, v99, 3, 0
	v_lshl_add_u32 v125, v149, 3, 0
	v_add_f64_e32 v[84:85], v[4:5], v[18:19]
	ds_store_b64 v115, v[6:7]
	ds_store_b64 v115, v[64:65] offset:3000
	ds_store_b64 v115, v[34:35] offset:6000
	ds_store_b64 v124, v[8:9]
	ds_store_b64 v124, v[66:67] offset:3000
	ds_store_b64 v124, v[36:37] offset:6000
	ds_store_b64 v123, v[32:33] offset:9600
	ds_store_b64 v123, v[68:69] offset:12600
	ds_store_b64 v123, v[38:39] offset:15600
	ds_store_b64 v56, v[16:17]
	ds_store_b64 v56, v[70:71] offset:3000
	ds_store_b64 v56, v[42:43] offset:6000
	;; [unrolled: 1-line block ×5, first 2 shown]
	v_fma_f64 v[86:87], v[0:1], s[6:7], v[46:47]
	v_fma_f64 v[46:47], v[0:1], s[2:3], v[46:47]
	;; [unrolled: 1-line block ×7, first 2 shown]
	global_wb scope:SCOPE_SE
	s_wait_dscnt 0x0
	s_barrier_signal -1
	s_barrier_wait -1
	global_inv scope:SCOPE_SE
	ds_load_2addr_b64 v[8:11], v93 offset0:5 offset1:230
	ds_load_2addr_b64 v[16:19], v95 offset0:9 offset1:234
	;; [unrolled: 1-line block ×3, first 2 shown]
	ds_load_b64 v[22:23], v120
	ds_load_2addr_b64 v[4:7], v92 offset0:7 offset1:232
	ds_load_b64 v[28:29], v115
	ds_load_b64 v[24:25], v116
	ds_load_2addr_b64 v[12:15], v94 offset0:13 offset1:238
	ds_load_b64 v[26:27], v119
	ds_load_b64 v[30:31], v90
	v_fma_f64 v[40:41], v[40:41], s[2:3], v[58:59]
	v_fma_f64 v[58:59], v[48:49], s[6:7], v[62:63]
	;; [unrolled: 1-line block ×3, first 2 shown]
	global_wb scope:SCOPE_SE
	s_wait_dscnt 0x0
	s_barrier_signal -1
	s_barrier_wait -1
	global_inv scope:SCOPE_SE
	ds_store_b64 v115, v[74:75]
	ds_store_b64 v115, v[86:87] offset:3000
	ds_store_b64 v115, v[46:47] offset:6000
	ds_store_b64 v124, v[76:77]
	ds_store_b64 v124, v[88:89] offset:3000
	ds_store_b64 v124, v[50:51] offset:6000
	;; [unrolled: 1-line block ×5, first 2 shown]
	ds_store_b64 v56, v[82:83]
	ds_store_b64 v56, v[121:122] offset:3000
	ds_store_b64 v56, v[40:41] offset:6000
	;; [unrolled: 1-line block ×5, first 2 shown]
	global_wb scope:SCOPE_SE
	s_wait_dscnt 0x0
	s_barrier_signal -1
	s_barrier_wait -1
	global_inv scope:SCOPE_SE
	s_and_saveexec_b32 s0, vcc_lo
	s_cbranch_execz .LBB0_15
; %bb.14:
	s_clause 0x1
	global_load_b128 v[32:35], v[20:21], off offset:17936
	global_load_b128 v[36:39], v[20:21], off offset:17920
	v_lshlrev_b32_e32 v56, 1, v112
	v_mad_co_u64_u32 v[121:122], null, s8, v98, 0
	v_sub_nc_u32_e32 v137, 0, v117
	v_mad_co_u64_u32 v[125:126], null, s8, v102, 0
	s_delay_alu instid0(VALU_DEP_4) | instskip(SKIP_4) | instid1(VALU_DEP_4)
	v_lshlrev_b64_e32 v[40:41], 4, v[56:57]
	v_lshlrev_b32_e32 v56, 1, v111
	v_mul_hi_u32 v138, 0xe90452d5, v97
	v_mad_co_u64_u32 v[111:112], null, s8, v100, 0
	v_mad_co_u64_u32 v[119:120], null, s8, v107, 0
	v_lshlrev_b64_e32 v[48:49], 4, v[56:57]
	v_lshlrev_b32_e32 v56, 1, v110
	v_add_co_u32 v20, vcc_lo, s4, v40
	s_wait_alu 0xfffd
	v_add_co_ci_u32_e32 v21, vcc_lo, s5, v41, vcc_lo
	s_delay_alu instid0(VALU_DEP_3)
	v_lshlrev_b64_e32 v[50:51], 4, v[56:57]
	v_lshlrev_b32_e32 v56, 1, v109
	v_mad_co_u64_u32 v[109:110], null, s8, v106, 0
	s_clause 0x1
	global_load_b128 v[40:43], v[20:21], off offset:17920
	global_load_b128 v[44:47], v[20:21], off offset:17936
	v_add_co_u32 v20, vcc_lo, s4, v48
	s_wait_alu 0xfffd
	v_add_co_ci_u32_e32 v21, vcc_lo, s5, v49, vcc_lo
	v_lshlrev_b64_e32 v[48:49], 4, v[56:57]
	v_add_co_u32 v60, vcc_lo, s4, v50
	s_wait_alu 0xfffd
	v_add_co_ci_u32_e32 v61, vcc_lo, s5, v51, vcc_lo
	v_mad_co_u64_u32 v[123:124], null, s8, v104, 0
	s_delay_alu instid0(VALU_DEP_4)
	v_add_co_u32 v68, vcc_lo, s4, v48
	s_wait_alu 0xfffd
	v_add_co_ci_u32_e32 v69, vcc_lo, s5, v49, vcc_lo
	s_clause 0x5
	global_load_b128 v[48:51], v[20:21], off offset:17936
	global_load_b128 v[52:55], v[20:21], off offset:17920
	;; [unrolled: 1-line block ×6, first 2 shown]
	ds_load_2addr_b64 v[72:75], v95 offset0:9 offset1:234
	ds_load_2addr_b64 v[76:79], v94 offset0:13 offset1:238
	;; [unrolled: 1-line block ×5, first 2 shown]
	v_add_co_u32 v150, vcc_lo, s10, v80
	v_sub_nc_u32_e32 v95, 0, v118
	v_mad_co_u64_u32 v[20:21], null, s8, v99, 0
	s_wait_alu 0xfffd
	v_add_co_ci_u32_e32 v151, vcc_lo, s11, v81, vcc_lo
	v_mad_co_u64_u32 v[80:81], null, s8, v108, 0
	ds_load_b64 v[133:134], v90
	ds_load_b64 v[135:136], v116
	;; [unrolled: 1-line block ×3, first 2 shown]
	v_dual_mov_b32 v90, v110 :: v_dual_add_nc_u32 v139, v113, v95
	v_mad_co_u64_u32 v[141:142], null, s9, v99, v[21:22]
	v_mad_co_u64_u32 v[117:118], null, s8, v105, 0
	;; [unrolled: 1-line block ×3, first 2 shown]
	s_wait_dscnt 0x5
	v_mad_co_u64_u32 v[142:143], null, s9, v108, v[81:82]
	s_wait_dscnt 0x3
	v_mad_co_u64_u32 v[143:144], null, s9, v106, v[90:91]
	s_delay_alu instid0(VALU_DEP_4) | instskip(SKIP_3) | instid1(VALU_DEP_4)
	v_mov_b32_e32 v110, v118
	v_mov_b32_e32 v118, v126
	v_lshrrev_b32_e32 v126, 10, v138
	v_mad_co_u64_u32 v[129:130], null, s8, v103, 0
	v_mad_co_u64_u32 v[105:106], null, s9, v105, v[110:111]
	s_delay_alu instid0(VALU_DEP_3) | instskip(SKIP_3) | instid1(VALU_DEP_4)
	v_mad_u32_u24 v90, 0x8ca, v126, v97
	v_mov_b32_e32 v110, v143
	v_mad_co_u64_u32 v[131:132], null, s8, v101, 0
	v_add_nc_u32_e32 v137, v114, v137
	v_add_nc_u32_e32 v143, 0x465, v90
	v_dual_mov_b32 v95, v112 :: v_dual_mov_b32 v112, v120
	v_dual_mov_b32 v113, v122 :: v_dual_mov_b32 v120, v128
	v_mov_b32_e32 v122, v130
	s_delay_alu instid0(VALU_DEP_3) | instskip(NEXT) | instid1(VALU_DEP_3)
	v_mad_co_u64_u32 v[99:100], null, s9, v100, v[95:96]
	v_mad_co_u64_u32 v[106:107], null, s9, v107, v[112:113]
	;; [unrolled: 1-line block ×5, first 2 shown]
	v_mov_b32_e32 v21, v141
	v_dual_mov_b32 v81, v142 :: v_dual_mov_b32 v118, v105
	v_mov_b32_e32 v120, v106
	v_mov_b32_e32 v128, v95
	s_delay_alu instid0(VALU_DEP_4)
	v_lshlrev_b64_e32 v[20:21], 4, v[20:21]
	v_mov_b32_e32 v130, v102
	v_mov_b32_e32 v112, v99
	ds_load_b64 v[137:138], v137
	ds_load_b64 v[139:140], v139
	v_mov_b32_e32 v126, v148
	s_wait_loadcnt 0x9
	v_mul_f64_e32 v[144:145], v[74:75], v[34:35]
	v_mul_f64_e32 v[34:35], v[18:19], v[34:35]
	s_wait_loadcnt 0x8
	v_mul_f64_e32 v[146:147], v[82:83], v[38:39]
	v_mul_f64_e32 v[38:39], v[8:9], v[38:39]
	s_wait_loadcnt 0x6
	v_mul_f64_e32 v[95:96], v[78:79], v[46:47]
	v_mul_f64_e32 v[46:47], v[14:15], v[46:47]
	v_fma_f64 v[18:19], v[18:19], v[32:33], -v[144:145]
	v_fma_f64 v[32:33], v[32:33], v[74:75], v[34:35]
	v_mad_co_u64_u32 v[74:75], null, s8, v143, 0
	v_mov_b32_e32 v114, v124
	v_mov_b32_e32 v124, v132
	s_wait_loadcnt 0x3
	v_mul_f64_e32 v[105:106], v[4:5], v[58:59]
	s_wait_loadcnt 0x0
	v_mul_f64_e32 v[141:142], v[91:92], v[70:71]
	v_mul_f64_e32 v[70:71], v[0:1], v[70:71]
	v_mad_co_u64_u32 v[107:108], null, s9, v98, v[113:114]
	s_wait_dscnt 0x2
	v_mad_co_u64_u32 v[113:114], null, s9, v104, v[114:115]
	v_mad_co_u64_u32 v[100:101], null, s9, v101, v[124:125]
	v_mul_f64_e32 v[103:104], v[72:73], v[42:43]
	v_mul_f64_e32 v[42:43], v[16:17], v[42:43]
	v_mov_b32_e32 v122, v107
	v_mul_f64_e32 v[97:98], v[12:13], v[50:51]
	v_mov_b32_e32 v124, v113
	v_mul_f64_e32 v[101:102], v[6:7], v[54:55]
	v_mul_f64_e32 v[107:108], v[2:3], v[62:63]
	;; [unrolled: 1-line block ×6, first 2 shown]
	v_fma_f64 v[8:9], v[8:9], v[36:37], -v[146:147]
	v_fma_f64 v[36:37], v[36:37], v[82:83], v[38:39]
	v_mul_f64_e32 v[38:39], v[93:94], v[62:63]
	v_mul_f64_e32 v[54:55], v[88:89], v[54:55]
	v_fma_f64 v[14:15], v[14:15], v[44:45], -v[95:96]
	v_lshlrev_b64_e32 v[58:59], 4, v[80:81]
	v_mad_co_u64_u32 v[62:63], null, s8, v90, 0
	v_add_nc_u32_e32 v144, 0x8ca, v90
	v_lshlrev_b64_e32 v[80:81], 4, v[109:110]
	v_mov_b32_e32 v132, v100
	v_lshlrev_b64_e32 v[99:100], 4, v[111:112]
	v_lshlrev_b64_e32 v[109:110], 4, v[119:120]
	v_lshlrev_b64_e32 v[111:112], 4, v[121:122]
	v_lshlrev_b64_e32 v[119:120], 4, v[125:126]
	v_lshlrev_b64_e32 v[121:122], 4, v[127:128]
	v_mad_co_u64_u32 v[82:83], null, s8, v144, 0
	v_fma_f64 v[16:17], v[16:17], v[40:41], -v[103:104]
	v_fma_f64 v[40:41], v[40:41], v[72:73], v[42:43]
	v_fma_f64 v[42:43], v[44:45], v[78:79], v[46:47]
	;; [unrolled: 1-line block ×6, first 2 shown]
	v_fma_f64 v[10:11], v[10:11], v[64:65], -v[113:114]
	v_fma_f64 v[64:65], v[64:65], v[84:85], v[66:67]
	v_fma_f64 v[66:67], v[68:69], v[91:92], v[70:71]
	v_fma_f64 v[68:69], v[0:1], v[68:69], -v[141:142]
	v_fma_f64 v[12:13], v[12:13], v[48:49], -v[34:35]
	;; [unrolled: 1-line block ×5, first 2 shown]
	v_add_co_u32 v60, vcc_lo, v150, v20
	s_wait_alu 0xfffd
	v_add_co_ci_u32_e32 v61, vcc_lo, v151, v21, vcc_lo
	v_add_f64_e32 v[20:21], v[36:37], v[32:33]
	v_add_f64_e32 v[38:39], v[8:9], v[18:19]
	v_add_co_u32 v78, vcc_lo, v150, v58
	s_wait_alu 0xfffd
	v_add_co_ci_u32_e32 v79, vcc_lo, v151, v59, vcc_lo
	v_mov_b32_e32 v0, v63
	v_lshlrev_b64_e32 v[103:104], 4, v[117:118]
	v_add_co_u32 v80, vcc_lo, v150, v80
	s_wait_alu 0xfffd
	v_add_co_ci_u32_e32 v81, vcc_lo, v151, v81, vcc_lo
	v_mad_co_u64_u32 v[0:1], null, s9, v90, v[0:1]
	v_mov_b32_e32 v1, v75
	v_add_co_u32 v84, vcc_lo, v150, v99
	s_wait_alu 0xfffd
	v_add_co_ci_u32_e32 v85, vcc_lo, v151, v100, vcc_lo
	v_add_f64_e32 v[50:51], v[16:17], v[14:15]
	v_add_co_u32 v86, vcc_lo, v150, v103
	v_add_f64_e32 v[48:49], v[40:41], v[42:43]
	s_wait_alu 0xfffd
	v_add_co_ci_u32_e32 v87, vcc_lo, v151, v104, vcc_lo
	v_add_f64_e32 v[52:53], v[46:47], v[44:45]
	v_add_f64_e32 v[54:55], v[72:73], v[76:77]
	v_lshlrev_b64_e32 v[117:118], 4, v[123:124]
	v_add_f64_e32 v[56:57], v[64:65], v[66:67]
	v_add_f64_e32 v[58:59], v[10:11], v[68:69]
	v_add_co_u32 v88, vcc_lo, v150, v109
	v_add_f64_e32 v[92:93], v[4:5], v[34:35]
	v_add_f64_e32 v[90:91], v[6:7], v[12:13]
	s_wait_alu 0xfffd
	v_add_co_ci_u32_e32 v89, vcc_lo, v151, v110, vcc_lo
	v_add_f64_e64 v[98:99], v[8:9], -v[18:19]
	v_add_f64_e32 v[100:101], v[36:37], v[115:116]
	v_add_f64_e32 v[8:9], v[28:29], v[8:9]
	v_add_co_u32 v94, vcc_lo, v150, v111
	v_add_f64_e64 v[36:37], v[36:37], -v[32:33]
	v_fma_f64 v[20:21], v[20:21], -0.5, v[115:116]
	v_fma_f64 v[28:29], v[38:39], -0.5, v[28:29]
	s_wait_alu 0xfffd
	v_add_co_ci_u32_e32 v95, vcc_lo, v151, v112, vcc_lo
	v_add_f64_e64 v[102:103], v[16:17], -v[14:15]
	v_add_f64_e32 v[16:17], v[30:31], v[16:17]
	s_wait_dscnt 0x0
	v_add_f64_e32 v[125:126], v[64:65], v[139:140]
	v_add_f64_e32 v[127:128], v[26:27], v[10:11]
	v_lshlrev_b64_e32 v[70:71], 4, v[131:132]
	v_add_co_u32 v96, vcc_lo, v150, v117
	v_add_f64_e32 v[104:105], v[40:41], v[133:134]
	v_add_f64_e64 v[106:107], v[40:41], -v[42:43]
	v_add_f64_e32 v[40:41], v[46:47], v[135:136]
	s_wait_alu 0xfffd
	v_add_co_ci_u32_e32 v97, vcc_lo, v151, v118, vcc_lo
	v_fma_f64 v[131:132], v[50:51], -0.5, v[30:31]
	v_add_f64_e32 v[110:111], v[24:25], v[6:7]
	v_fma_f64 v[38:39], v[48:49], -0.5, v[133:134]
	v_add_f64_e64 v[48:49], v[10:11], -v[68:69]
	v_add_f64_e32 v[112:113], v[72:73], v[137:138]
	v_fma_f64 v[133:134], v[52:53], -0.5, v[135:136]
	v_fma_f64 v[52:53], v[54:55], -0.5, v[137:138]
	v_add_f64_e64 v[54:55], v[64:65], -v[66:67]
	v_fma_f64 v[50:51], v[56:57], -0.5, v[139:140]
	v_fma_f64 v[56:57], v[58:59], -0.5, v[26:27]
	v_add_f64_e32 v[117:118], v[22:23], v[4:5]
	v_lshlrev_b64_e32 v[123:124], 4, v[129:130]
	v_add_f64_e64 v[129:130], v[4:5], -v[34:35]
	v_add_f64_e64 v[58:59], v[72:73], -v[76:77]
	v_fma_f64 v[72:73], v[92:93], -0.5, v[22:23]
	v_add_f64_e64 v[108:109], v[6:7], -v[12:13]
	v_add_f64_e64 v[114:115], v[46:47], -v[44:45]
	v_fma_f64 v[64:65], v[90:91], -0.5, v[24:25]
	v_mov_b32_e32 v2, v83
	v_add_co_u32 v90, vcc_lo, v150, v119
	s_wait_alu 0xfffd
	v_add_co_ci_u32_e32 v91, vcc_lo, v151, v120, vcc_lo
	s_delay_alu instid0(VALU_DEP_3)
	v_mad_co_u64_u32 v[119:120], null, s9, v143, v[1:2]
	v_add_co_u32 v92, vcc_lo, v150, v121
	v_mad_co_u64_u32 v[120:121], null, s9, v144, v[2:3]
	v_mov_b32_e32 v63, v0
	v_add_f64_e32 v[2:3], v[32:33], v[100:101]
	v_add_f64_e32 v[0:1], v[8:9], v[18:19]
	v_fma_f64 v[26:27], v[98:99], s[6:7], v[20:21]
	v_fma_f64 v[24:25], v[36:37], s[2:3], v[28:29]
	;; [unrolled: 1-line block ×4, first 2 shown]
	v_add_f64_e32 v[4:5], v[16:17], v[14:15]
	v_add_f64_e32 v[18:19], v[66:67], v[125:126]
	;; [unrolled: 1-line block ×7, first 2 shown]
	v_fma_f64 v[30:31], v[102:103], s[2:3], v[38:39]
	v_fma_f64 v[32:33], v[106:107], s[2:3], v[131:132]
	;; [unrolled: 1-line block ×7, first 2 shown]
	v_add_f64_e32 v[12:13], v[117:118], v[34:35]
	v_fma_f64 v[42:43], v[129:130], s[2:3], v[52:53]
	v_fma_f64 v[54:55], v[129:130], s[6:7], v[52:53]
	;; [unrolled: 1-line block ×9, first 2 shown]
	v_mov_b32_e32 v75, v119
	s_wait_alu 0xfffd
	v_add_co_ci_u32_e32 v93, vcc_lo, v151, v122, vcc_lo
	v_add_co_u32 v64, vcc_lo, v150, v123
	v_lshlrev_b64_e32 v[62:63], 4, v[62:63]
	v_mov_b32_e32 v83, v120
	s_wait_alu 0xfffd
	v_add_co_ci_u32_e32 v65, vcc_lo, v151, v124, vcc_lo
	v_add_co_u32 v66, vcc_lo, v150, v70
	v_lshlrev_b64_e32 v[68:69], 4, v[74:75]
	s_wait_alu 0xfffd
	v_add_co_ci_u32_e32 v67, vcc_lo, v151, v71, vcc_lo
	v_lshlrev_b64_e32 v[70:71], 4, v[82:83]
	v_add_co_u32 v62, vcc_lo, v150, v62
	s_wait_alu 0xfffd
	v_add_co_ci_u32_e32 v63, vcc_lo, v151, v63, vcc_lo
	v_add_co_u32 v68, vcc_lo, v150, v68
	s_wait_alu 0xfffd
	v_add_co_ci_u32_e32 v69, vcc_lo, v151, v69, vcc_lo
	;; [unrolled: 3-line block ×3, first 2 shown]
	s_clause 0xe
	global_store_b128 v[60:61], v[0:3], off
	global_store_b128 v[78:79], v[24:27], off
	;; [unrolled: 1-line block ×15, first 2 shown]
.LBB0_15:
	s_nop 0
	s_sendmsg sendmsg(MSG_DEALLOC_VGPRS)
	s_endpgm
	.section	.rodata,"a",@progbits
	.p2align	6, 0x0
	.amdhsa_kernel fft_rtc_fwd_len3375_factors_5_5_5_3_3_3_wgs_225_tpt_225_halfLds_dp_ip_CI_sbrr_dirReg
		.amdhsa_group_segment_fixed_size 0
		.amdhsa_private_segment_fixed_size 0
		.amdhsa_kernarg_size 88
		.amdhsa_user_sgpr_count 2
		.amdhsa_user_sgpr_dispatch_ptr 0
		.amdhsa_user_sgpr_queue_ptr 0
		.amdhsa_user_sgpr_kernarg_segment_ptr 1
		.amdhsa_user_sgpr_dispatch_id 0
		.amdhsa_user_sgpr_private_segment_size 0
		.amdhsa_wavefront_size32 1
		.amdhsa_uses_dynamic_stack 0
		.amdhsa_enable_private_segment 0
		.amdhsa_system_sgpr_workgroup_id_x 1
		.amdhsa_system_sgpr_workgroup_id_y 0
		.amdhsa_system_sgpr_workgroup_id_z 0
		.amdhsa_system_sgpr_workgroup_info 0
		.amdhsa_system_vgpr_workitem_id 0
		.amdhsa_next_free_vgpr 162
		.amdhsa_next_free_sgpr 35
		.amdhsa_reserve_vcc 1
		.amdhsa_float_round_mode_32 0
		.amdhsa_float_round_mode_16_64 0
		.amdhsa_float_denorm_mode_32 3
		.amdhsa_float_denorm_mode_16_64 3
		.amdhsa_fp16_overflow 0
		.amdhsa_workgroup_processor_mode 1
		.amdhsa_memory_ordered 1
		.amdhsa_forward_progress 0
		.amdhsa_round_robin_scheduling 0
		.amdhsa_exception_fp_ieee_invalid_op 0
		.amdhsa_exception_fp_denorm_src 0
		.amdhsa_exception_fp_ieee_div_zero 0
		.amdhsa_exception_fp_ieee_overflow 0
		.amdhsa_exception_fp_ieee_underflow 0
		.amdhsa_exception_fp_ieee_inexact 0
		.amdhsa_exception_int_div_zero 0
	.end_amdhsa_kernel
	.text
.Lfunc_end0:
	.size	fft_rtc_fwd_len3375_factors_5_5_5_3_3_3_wgs_225_tpt_225_halfLds_dp_ip_CI_sbrr_dirReg, .Lfunc_end0-fft_rtc_fwd_len3375_factors_5_5_5_3_3_3_wgs_225_tpt_225_halfLds_dp_ip_CI_sbrr_dirReg
                                        ; -- End function
	.section	.AMDGPU.csdata,"",@progbits
; Kernel info:
; codeLenInByte = 14536
; NumSgprs: 37
; NumVgprs: 162
; ScratchSize: 0
; MemoryBound: 1
; FloatMode: 240
; IeeeMode: 1
; LDSByteSize: 0 bytes/workgroup (compile time only)
; SGPRBlocks: 4
; VGPRBlocks: 20
; NumSGPRsForWavesPerEU: 37
; NumVGPRsForWavesPerEU: 162
; Occupancy: 9
; WaveLimiterHint : 1
; COMPUTE_PGM_RSRC2:SCRATCH_EN: 0
; COMPUTE_PGM_RSRC2:USER_SGPR: 2
; COMPUTE_PGM_RSRC2:TRAP_HANDLER: 0
; COMPUTE_PGM_RSRC2:TGID_X_EN: 1
; COMPUTE_PGM_RSRC2:TGID_Y_EN: 0
; COMPUTE_PGM_RSRC2:TGID_Z_EN: 0
; COMPUTE_PGM_RSRC2:TIDIG_COMP_CNT: 0
	.text
	.p2alignl 7, 3214868480
	.fill 96, 4, 3214868480
	.type	__hip_cuid_804048f164144d41,@object ; @__hip_cuid_804048f164144d41
	.section	.bss,"aw",@nobits
	.globl	__hip_cuid_804048f164144d41
__hip_cuid_804048f164144d41:
	.byte	0                               ; 0x0
	.size	__hip_cuid_804048f164144d41, 1

	.ident	"AMD clang version 19.0.0git (https://github.com/RadeonOpenCompute/llvm-project roc-6.4.0 25133 c7fe45cf4b819c5991fe208aaa96edf142730f1d)"
	.section	".note.GNU-stack","",@progbits
	.addrsig
	.addrsig_sym __hip_cuid_804048f164144d41
	.amdgpu_metadata
---
amdhsa.kernels:
  - .args:
      - .actual_access:  read_only
        .address_space:  global
        .offset:         0
        .size:           8
        .value_kind:     global_buffer
      - .offset:         8
        .size:           8
        .value_kind:     by_value
      - .actual_access:  read_only
        .address_space:  global
        .offset:         16
        .size:           8
        .value_kind:     global_buffer
      - .actual_access:  read_only
        .address_space:  global
        .offset:         24
        .size:           8
        .value_kind:     global_buffer
      - .offset:         32
        .size:           8
        .value_kind:     by_value
      - .actual_access:  read_only
        .address_space:  global
        .offset:         40
        .size:           8
        .value_kind:     global_buffer
      - .actual_access:  read_only
        .address_space:  global
        .offset:         48
        .size:           8
        .value_kind:     global_buffer
      - .offset:         56
        .size:           4
        .value_kind:     by_value
      - .actual_access:  read_only
        .address_space:  global
        .offset:         64
        .size:           8
        .value_kind:     global_buffer
      - .actual_access:  read_only
        .address_space:  global
        .offset:         72
        .size:           8
        .value_kind:     global_buffer
      - .address_space:  global
        .offset:         80
        .size:           8
        .value_kind:     global_buffer
    .group_segment_fixed_size: 0
    .kernarg_segment_align: 8
    .kernarg_segment_size: 88
    .language:       OpenCL C
    .language_version:
      - 2
      - 0
    .max_flat_workgroup_size: 225
    .name:           fft_rtc_fwd_len3375_factors_5_5_5_3_3_3_wgs_225_tpt_225_halfLds_dp_ip_CI_sbrr_dirReg
    .private_segment_fixed_size: 0
    .sgpr_count:     37
    .sgpr_spill_count: 0
    .symbol:         fft_rtc_fwd_len3375_factors_5_5_5_3_3_3_wgs_225_tpt_225_halfLds_dp_ip_CI_sbrr_dirReg.kd
    .uniform_work_group_size: 1
    .uses_dynamic_stack: false
    .vgpr_count:     162
    .vgpr_spill_count: 0
    .wavefront_size: 32
    .workgroup_processor_mode: 1
amdhsa.target:   amdgcn-amd-amdhsa--gfx1201
amdhsa.version:
  - 1
  - 2
...

	.end_amdgpu_metadata
